;; amdgpu-corpus repo=ROCm/rocSPARSE kind=compiled arch=gfx1100 opt=O3
	.text
	.amdgcn_target "amdgcn-amd-amdhsa--gfx1100"
	.amdhsa_code_object_version 6
	.section	.text._ZN9rocsparseL29bsrmmnn_small_blockdim_kernelILj64ELj8ELj2EiiffffEEv20rocsparse_direction_T3_S2_llNS_24const_host_device_scalarIT7_EEPKT2_PKS2_PKT4_PKT5_llS5_PT6_ll16rocsparse_order_21rocsparse_index_base_b,"axG",@progbits,_ZN9rocsparseL29bsrmmnn_small_blockdim_kernelILj64ELj8ELj2EiiffffEEv20rocsparse_direction_T3_S2_llNS_24const_host_device_scalarIT7_EEPKT2_PKS2_PKT4_PKT5_llS5_PT6_ll16rocsparse_order_21rocsparse_index_base_b,comdat
	.globl	_ZN9rocsparseL29bsrmmnn_small_blockdim_kernelILj64ELj8ELj2EiiffffEEv20rocsparse_direction_T3_S2_llNS_24const_host_device_scalarIT7_EEPKT2_PKS2_PKT4_PKT5_llS5_PT6_ll16rocsparse_order_21rocsparse_index_base_b ; -- Begin function _ZN9rocsparseL29bsrmmnn_small_blockdim_kernelILj64ELj8ELj2EiiffffEEv20rocsparse_direction_T3_S2_llNS_24const_host_device_scalarIT7_EEPKT2_PKS2_PKT4_PKT5_llS5_PT6_ll16rocsparse_order_21rocsparse_index_base_b
	.p2align	8
	.type	_ZN9rocsparseL29bsrmmnn_small_blockdim_kernelILj64ELj8ELj2EiiffffEEv20rocsparse_direction_T3_S2_llNS_24const_host_device_scalarIT7_EEPKT2_PKS2_PKT4_PKT5_llS5_PT6_ll16rocsparse_order_21rocsparse_index_base_b,@function
_ZN9rocsparseL29bsrmmnn_small_blockdim_kernelILj64ELj8ELj2EiiffffEEv20rocsparse_direction_T3_S2_llNS_24const_host_device_scalarIT7_EEPKT2_PKS2_PKT4_PKT5_llS5_PT6_ll16rocsparse_order_21rocsparse_index_base_b: ; @_ZN9rocsparseL29bsrmmnn_small_blockdim_kernelILj64ELj8ELj2EiiffffEEv20rocsparse_direction_T3_S2_llNS_24const_host_device_scalarIT7_EEPKT2_PKS2_PKT4_PKT5_llS5_PT6_ll16rocsparse_order_21rocsparse_index_base_b
; %bb.0:
	s_clause 0x2
	s_load_b128 s[16:19], s[0:1], 0x78
	s_load_b64 s[2:3], s[0:1], 0x20
	s_load_b64 s[12:13], s[0:1], 0x58
	s_waitcnt lgkmcnt(0)
	s_bitcmp1_b32 s18, 0
	s_cselect_b32 s4, -1, 0
	s_delay_alu instid0(SALU_CYCLE_1)
	s_and_b32 vcc_lo, exec_lo, s4
	s_xor_b32 s4, s4, -1
	s_cbranch_vccnz .LBB0_2
; %bb.1:
	s_load_b32 s2, s[2:3], 0x0
.LBB0_2:
	s_and_not1_b32 vcc_lo, exec_lo, s4
	s_cbranch_vccnz .LBB0_4
; %bb.3:
	s_load_b32 s12, s[12:13], 0x0
.LBB0_4:
	s_waitcnt lgkmcnt(0)
	v_cmp_eq_f32_e64 s3, s2, 0
	v_cmp_eq_f32_e64 s4, s12, 1.0
	s_delay_alu instid0(VALU_DEP_1) | instskip(NEXT) | instid1(SALU_CYCLE_1)
	s_and_b32 s3, s3, s4
	s_and_b32 vcc_lo, exec_lo, s3
	s_cbranch_vccnz .LBB0_28
; %bb.5:
	s_clause 0x1
	s_load_b32 s3, s[0:1], 0x88
	s_load_b128 s[20:23], s[0:1], 0x0
	s_add_u32 s4, s0, 0x88
	s_addc_u32 s5, s1, 0
	v_mov_b32_e32 v1, 0
	s_waitcnt lgkmcnt(0)
	s_cmp_lt_u32 s14, s3
	s_cselect_b32 s6, 12, 18
	s_delay_alu instid0(SALU_CYCLE_1)
	s_add_u32 s4, s4, s6
	s_addc_u32 s5, s5, 0
	global_load_u16 v5, v1, s[4:5]
	s_mov_b32 s4, exec_lo
	s_waitcnt vmcnt(0)
	v_mad_u64_u32 v[3:4], null, s14, v5, v[0:1]
	s_delay_alu instid0(VALU_DEP_1) | instskip(NEXT) | instid1(VALU_DEP_1)
	v_lshrrev_b32_e32 v2, 4, v3
	v_cmpx_gt_i32_e64 s21, v2
	s_cbranch_execz .LBB0_28
; %bb.6:
	s_clause 0x2
	s_load_b128 s[24:27], s[0:1], 0x60
	s_load_b64 s[18:19], s[0:1], 0x48
	s_load_b256 s[4:11], s[0:1], 0x28
	v_and_b32_e32 v10, 7, v3
	v_lshrrev_b32_e32 v9, 3, v3
	v_mul_lo_u32 v7, s3, v5
	v_bfe_u32 v20, v3, 3, 1
	v_lshrrev_b32_e32 v15, 3, v0
	v_lshl_or_b32 v3, s15, 3, v10
	v_mul_u32_u24_e32 v0, 3, v10
	s_cmp_lg_u32 s16, 1
	v_cmp_neq_f32_e64 s1, s12, 0
	s_cselect_b32 s3, -1, 0
	v_ashrrev_i32_e32 v4, 31, v3
	v_lshrrev_b32_e32 v13, 4, v7
	v_cmp_gt_i32_e64 s0, s22, v3
	s_cmp_eq_u32 s20, 0
	v_lshl_or_b32 v11, v15, 5, 0x300
	v_mul_u32_u24_e32 v12, 0x60, v15
	s_waitcnt lgkmcnt(0)
	v_mad_u64_u32 v[5:6], null, v9, s26, 0
	v_lshlrev_b32_e32 v21, 2, v0
	v_mul_lo_u32 v22, v4, s18
	v_mul_lo_u32 v23, v3, s19
	v_mad_u64_u32 v[7:8], null, v3, s18, 0
	v_mul_lo_u32 v24, v4, s26
	v_mov_b32_e32 v0, v6
	v_mul_lo_u32 v6, v3, s27
	v_mad_u64_u32 v[16:17], null, v3, s26, 0
	v_lshlrev_b64 v[3:4], 2, v[3:4]
	s_delay_alu instid0(VALU_DEP_4)
	v_mad_u64_u32 v[18:19], null, v9, s27, v[0:1]
	v_add3_u32 v8, v8, v23, v22
	v_lshl_or_b32 v14, v10, 2, v11
	v_mad_u32_u24 v15, 0x60, v15, v21
	v_add3_u32 v17, v17, v6, v24
	v_add_co_u32 v0, vcc_lo, s24, v3
	v_mov_b32_e32 v6, v18
	v_lshlrev_b64 v[7:8], 2, v[7:8]
	v_add_co_ci_u32_e32 v3, vcc_lo, s25, v4, vcc_lo
	v_lshlrev_b64 v[18:19], 2, v[16:17]
	s_delay_alu instid0(VALU_DEP_4) | instskip(NEXT) | instid1(VALU_DEP_4)
	v_lshlrev_b64 v[4:5], 2, v[5:6]
	v_add_co_u32 v16, vcc_lo, s10, v7
	v_add_co_ci_u32_e32 v17, vcc_lo, s11, v8, vcc_lo
	s_delay_alu instid0(VALU_DEP_3) | instskip(NEXT) | instid1(VALU_DEP_4)
	v_add_co_u32 v4, vcc_lo, v0, v4
	v_add_co_ci_u32_e32 v5, vcc_lo, v3, v5, vcc_lo
	v_lshlrev_b32_e32 v0, 2, v9
	v_add_co_u32 v3, vcc_lo, s24, v18
	s_cselect_b32 s11, -1, 0
	v_add_co_ci_u32_e32 v7, vcc_lo, s25, v19, vcc_lo
	v_cndmask_b32_e64 v8, 0, 1, s11
	s_delay_alu instid0(VALU_DEP_3) | instskip(NEXT) | instid1(VALU_DEP_3)
	v_add_co_u32 v6, vcc_lo, v3, v0
	v_add_co_ci_u32_e32 v7, vcc_lo, 0, v7, vcc_lo
	s_delay_alu instid0(VALU_DEP_3)
	v_lshlrev_b32_e32 v18, v8, v20
	v_subrev_nc_u32_e32 v19, s17, v10
	s_and_b32 s11, s11, exec_lo
	s_mov_b32 s10, 0
	s_cselect_b32 s11, 1, 2
	s_branch .LBB0_8
.LBB0_7:                                ;   in Loop: Header=BB0_8 Depth=1
	s_or_b32 exec_lo, exec_lo, s13
	v_add_nc_u32_e32 v2, v2, v13
	s_delay_alu instid0(VALU_DEP_1) | instskip(SKIP_1) | instid1(SALU_CYCLE_1)
	v_cmp_le_i32_e32 vcc_lo, s21, v2
	s_or_b32 s10, vcc_lo, s10
	s_and_not1_b32 exec_lo, exec_lo, s10
	s_cbranch_execz .LBB0_28
.LBB0_8:                                ; =>This Loop Header: Depth=1
                                        ;     Child Loop BB0_11 Depth 2
	v_mov_b32_e32 v3, v1
	s_mov_b32 s13, exec_lo
	s_delay_alu instid0(VALU_DEP_1) | instskip(SKIP_1) | instid1(VALU_DEP_2)
	v_lshlrev_b64 v[8:9], 2, v[2:3]
	v_mov_b32_e32 v3, 0
	v_add_co_u32 v8, vcc_lo, s4, v8
	s_delay_alu instid0(VALU_DEP_3)
	v_add_co_ci_u32_e32 v9, vcc_lo, s5, v9, vcc_lo
	global_load_b64 v[8:9], v[8:9], off
	s_waitcnt vmcnt(0)
	v_cmpx_lt_i32_e64 v8, v9
	s_cbranch_execz .LBB0_16
; %bb.9:                                ;   in Loop: Header=BB0_8 Depth=1
	v_dual_mov_b32 v3, 0 :: v_dual_add_nc_u32 v0, v19, v8
	v_subrev_nc_u32_e32 v20, s17, v9
	v_subrev_nc_u32_e32 v21, s17, v8
	s_mov_b32 s14, 0
	s_delay_alu instid0(VALU_DEP_3)
	v_lshl_or_b32 v0, v0, 2, v18
	s_branch .LBB0_11
.LBB0_10:                               ;   in Loop: Header=BB0_11 Depth=2
	s_or_b32 exec_lo, exec_lo, s15
	v_add_nc_u32_e32 v21, 8, v21
	v_add_nc_u32_e32 v0, 32, v0
	s_delay_alu instid0(VALU_DEP_2) | instskip(SKIP_1) | instid1(SALU_CYCLE_1)
	v_cmp_ge_i32_e32 vcc_lo, v21, v20
	s_or_b32 s14, vcc_lo, s14
	s_and_not1_b32 exec_lo, exec_lo, s14
	s_cbranch_execz .LBB0_15
.LBB0_11:                               ;   Parent Loop BB0_8 Depth=1
                                        ; =>  This Inner Loop Header: Depth=2
	s_delay_alu instid0(VALU_DEP_2) | instskip(SKIP_2) | instid1(VALU_DEP_2)
	v_dual_mov_b32 v9, 0 :: v_dual_add_nc_u32 v8, v10, v21
	v_dual_mov_b32 v22, 0 :: v_dual_mov_b32 v23, 0
	s_mov_b32 s15, exec_lo
	v_cmpx_lt_i32_e64 v8, v20
	s_cbranch_execz .LBB0_13
; %bb.12:                               ;   in Loop: Header=BB0_11 Depth=2
	v_ashrrev_i32_e32 v9, 31, v8
	v_dual_mov_b32 v23, v1 :: v_dual_add_nc_u32 v22, s11, v0
	v_lshlrev_b64 v[24:25], 2, v[0:1]
	s_delay_alu instid0(VALU_DEP_3) | instskip(NEXT) | instid1(VALU_DEP_3)
	v_lshlrev_b64 v[8:9], 2, v[8:9]
	v_lshlrev_b64 v[22:23], 2, v[22:23]
	s_delay_alu instid0(VALU_DEP_2) | instskip(NEXT) | instid1(VALU_DEP_3)
	v_add_co_u32 v8, vcc_lo, s6, v8
	v_add_co_ci_u32_e32 v9, vcc_lo, s7, v9, vcc_lo
	global_load_b32 v26, v[8:9], off
	v_add_co_u32 v8, vcc_lo, s8, v24
	v_add_co_ci_u32_e32 v9, vcc_lo, s9, v25, vcc_lo
	v_add_co_u32 v22, vcc_lo, s8, v22
	v_add_co_ci_u32_e32 v23, vcc_lo, s9, v23, vcc_lo
	s_clause 0x1
	global_load_b32 v9, v[8:9], off
	global_load_b32 v23, v[22:23], off
	s_waitcnt vmcnt(2)
	v_subrev_nc_u32_e32 v8, s17, v26
	s_delay_alu instid0(VALU_DEP_1)
	v_lshlrev_b32_e32 v22, 1, v8
.LBB0_13:                               ;   in Loop: Header=BB0_11 Depth=2
	s_or_b32 exec_lo, exec_lo, s15
	ds_store_b32 v14, v22
	s_waitcnt vmcnt(0)
	ds_store_2addr_b32 v15, v9, v23 offset1:1
	s_waitcnt lgkmcnt(0)
	s_waitcnt_vscnt null, 0x0
	s_barrier
	buffer_gl0_inv
	s_and_saveexec_b32 s15, s0
	s_cbranch_execz .LBB0_10
; %bb.14:                               ;   in Loop: Header=BB0_11 Depth=2
	ds_load_b128 v[22:25], v11
	ds_load_b128 v[26:29], v11 offset:16
	s_waitcnt lgkmcnt(1)
	v_ashrrev_i32_e32 v9, 31, v22
	v_mov_b32_e32 v8, v22
	v_ashrrev_i32_e32 v31, 31, v23
	v_ashrrev_i32_e32 v33, 31, v25
	s_delay_alu instid0(VALU_DEP_3) | instskip(NEXT) | instid1(VALU_DEP_1)
	v_lshlrev_b64 v[8:9], 2, v[8:9]
	v_add_co_u32 v8, vcc_lo, v16, v8
	s_delay_alu instid0(VALU_DEP_2) | instskip(SKIP_3) | instid1(VALU_DEP_2)
	v_add_co_ci_u32_e32 v9, vcc_lo, v17, v9, vcc_lo
	global_load_b64 v[8:9], v[8:9], off
	v_mov_b32_e32 v30, v23
	v_ashrrev_i32_e32 v23, 31, v24
	v_lshlrev_b64 v[30:31], 2, v[30:31]
	s_delay_alu instid0(VALU_DEP_1) | instskip(NEXT) | instid1(VALU_DEP_2)
	v_add_co_u32 v30, vcc_lo, v16, v30
	v_add_co_ci_u32_e32 v31, vcc_lo, v17, v31, vcc_lo
	global_load_b64 v[30:31], v[30:31], off
	v_mov_b32_e32 v22, v24
	v_mov_b32_e32 v32, v25
	s_delay_alu instid0(VALU_DEP_2) | instskip(NEXT) | instid1(VALU_DEP_2)
	v_lshlrev_b64 v[22:23], 2, v[22:23]
	v_lshlrev_b64 v[24:25], 2, v[32:33]
	s_delay_alu instid0(VALU_DEP_2) | instskip(NEXT) | instid1(VALU_DEP_3)
	v_add_co_u32 v22, vcc_lo, v16, v22
	v_add_co_ci_u32_e32 v23, vcc_lo, v17, v23, vcc_lo
	s_delay_alu instid0(VALU_DEP_3) | instskip(NEXT) | instid1(VALU_DEP_4)
	v_add_co_u32 v24, vcc_lo, v16, v24
	v_add_co_ci_u32_e32 v25, vcc_lo, v17, v25, vcc_lo
	s_clause 0x1
	global_load_b64 v[32:33], v[22:23], off
	global_load_b64 v[34:35], v[24:25], off
	s_waitcnt lgkmcnt(0)
	v_ashrrev_i32_e32 v23, 31, v26
	v_mov_b32_e32 v22, v26
	v_ashrrev_i32_e32 v25, 31, v27
	v_mov_b32_e32 v24, v27
	s_delay_alu instid0(VALU_DEP_3) | instskip(NEXT) | instid1(VALU_DEP_2)
	v_lshlrev_b64 v[22:23], 2, v[22:23]
	v_lshlrev_b64 v[24:25], 2, v[24:25]
	s_delay_alu instid0(VALU_DEP_2) | instskip(NEXT) | instid1(VALU_DEP_3)
	v_add_co_u32 v22, vcc_lo, v16, v22
	v_add_co_ci_u32_e32 v23, vcc_lo, v17, v23, vcc_lo
	s_delay_alu instid0(VALU_DEP_3) | instskip(NEXT) | instid1(VALU_DEP_4)
	v_add_co_u32 v24, vcc_lo, v16, v24
	v_add_co_ci_u32_e32 v25, vcc_lo, v17, v25, vcc_lo
	s_clause 0x1
	global_load_b64 v[36:37], v[22:23], off
	global_load_b64 v[38:39], v[24:25], off
	v_ashrrev_i32_e32 v23, 31, v28
	v_mov_b32_e32 v22, v28
	v_ashrrev_i32_e32 v25, 31, v29
	v_mov_b32_e32 v24, v29
	s_delay_alu instid0(VALU_DEP_3) | instskip(NEXT) | instid1(VALU_DEP_2)
	v_lshlrev_b64 v[22:23], 2, v[22:23]
	v_lshlrev_b64 v[24:25], 2, v[24:25]
	s_delay_alu instid0(VALU_DEP_2) | instskip(NEXT) | instid1(VALU_DEP_3)
	v_add_co_u32 v22, vcc_lo, v16, v22
	v_add_co_ci_u32_e32 v23, vcc_lo, v17, v23, vcc_lo
	global_load_b64 v[40:41], v[22:23], off
	v_add_co_u32 v22, vcc_lo, v16, v24
	v_add_co_ci_u32_e32 v23, vcc_lo, v17, v25, vcc_lo
	global_load_b64 v[42:43], v[22:23], off
	ds_load_2addr_b64 v[22:25], v12 offset1:3
	ds_load_2addr_b32 v[26:27], v12 offset0:3 offset1:4
	s_waitcnt vmcnt(7) lgkmcnt(1)
	v_fmac_f32_e32 v3, v22, v8
	s_delay_alu instid0(VALU_DEP_1)
	v_fmac_f32_e32 v3, v23, v9
	ds_load_2addr_b32 v[8:9], v12 offset0:9 offset1:10
	ds_load_2addr_b32 v[22:23], v12 offset0:15 offset1:16
	;; [unrolled: 1-line block ×3, first 2 shown]
	s_waitcnt vmcnt(6) lgkmcnt(3)
	v_fmac_f32_e32 v3, v26, v30
	s_delay_alu instid0(VALU_DEP_1) | instskip(SKIP_3) | instid1(VALU_DEP_1)
	v_fmac_f32_e32 v3, v27, v31
	ds_load_2addr_b64 v[26:29], v12 offset0:6 offset1:9
	s_waitcnt vmcnt(5)
	v_fmac_f32_e32 v3, v24, v32
	v_fmac_f32_e32 v3, v25, v33
	s_waitcnt vmcnt(4) lgkmcnt(3)
	s_delay_alu instid0(VALU_DEP_1) | instskip(NEXT) | instid1(VALU_DEP_1)
	v_fmac_f32_e32 v3, v8, v34
	v_fmac_f32_e32 v3, v9, v35
	s_waitcnt vmcnt(3) lgkmcnt(0)
	s_delay_alu instid0(VALU_DEP_1) | instskip(NEXT) | instid1(VALU_DEP_1)
	v_fmac_f32_e32 v3, v26, v36
	v_fmac_f32_e32 v3, v27, v37
	s_waitcnt vmcnt(2)
	s_delay_alu instid0(VALU_DEP_1) | instskip(NEXT) | instid1(VALU_DEP_1)
	v_fmac_f32_e32 v3, v22, v38
	v_fmac_f32_e32 v3, v23, v39
	s_waitcnt vmcnt(1)
	;; [unrolled: 4-line block ×3, first 2 shown]
	s_delay_alu instid0(VALU_DEP_1) | instskip(NEXT) | instid1(VALU_DEP_1)
	v_fmac_f32_e32 v3, v44, v42
	v_fmac_f32_e32 v3, v45, v43
	s_branch .LBB0_10
.LBB0_15:                               ;   in Loop: Header=BB0_8 Depth=1
	s_or_b32 exec_lo, exec_lo, s14
.LBB0_16:                               ;   in Loop: Header=BB0_8 Depth=1
	s_delay_alu instid0(SALU_CYCLE_1)
	s_or_b32 exec_lo, exec_lo, s13
	s_and_saveexec_b32 s13, s0
	s_cbranch_execz .LBB0_7
; %bb.17:                               ;   in Loop: Header=BB0_8 Depth=1
	v_mul_f32_e32 v0, s2, v3
	s_and_b32 vcc_lo, exec_lo, s1
	s_cbranch_vccz .LBB0_23
; %bb.18:                               ;   in Loop: Header=BB0_8 Depth=1
	s_and_b32 vcc_lo, exec_lo, s3
	s_mov_b32 s14, -1
	s_cbranch_vccz .LBB0_20
; %bb.19:                               ;   in Loop: Header=BB0_8 Depth=1
	global_load_b32 v3, v[4:5], off
	s_mov_b32 s14, 0
	s_waitcnt vmcnt(0)
	v_fma_f32 v3, s12, v3, v0
	global_store_b32 v[4:5], v3, off
.LBB0_20:                               ;   in Loop: Header=BB0_8 Depth=1
	s_and_not1_b32 vcc_lo, exec_lo, s14
	s_cbranch_vccnz .LBB0_22
; %bb.21:                               ;   in Loop: Header=BB0_8 Depth=1
	global_load_b32 v3, v[6:7], off
	s_waitcnt vmcnt(0)
	v_fma_f32 v3, s12, v3, v0
	global_store_b32 v[6:7], v3, off
.LBB0_22:                               ;   in Loop: Header=BB0_8 Depth=1
	s_cbranch_execnz .LBB0_7
	s_branch .LBB0_24
.LBB0_23:                               ;   in Loop: Header=BB0_8 Depth=1
.LBB0_24:                               ;   in Loop: Header=BB0_8 Depth=1
	s_and_b32 vcc_lo, exec_lo, s3
	s_mov_b32 s14, -1
	s_cbranch_vccz .LBB0_26
; %bb.25:                               ;   in Loop: Header=BB0_8 Depth=1
	s_mov_b32 s14, 0
	global_store_b32 v[4:5], v0, off
.LBB0_26:                               ;   in Loop: Header=BB0_8 Depth=1
	s_and_not1_b32 vcc_lo, exec_lo, s14
	s_cbranch_vccnz .LBB0_7
; %bb.27:                               ;   in Loop: Header=BB0_8 Depth=1
	global_store_b32 v[6:7], v0, off
	s_branch .LBB0_7
.LBB0_28:
	s_nop 0
	s_sendmsg sendmsg(MSG_DEALLOC_VGPRS)
	s_endpgm
	.section	.rodata,"a",@progbits
	.p2align	6, 0x0
	.amdhsa_kernel _ZN9rocsparseL29bsrmmnn_small_blockdim_kernelILj64ELj8ELj2EiiffffEEv20rocsparse_direction_T3_S2_llNS_24const_host_device_scalarIT7_EEPKT2_PKS2_PKT4_PKT5_llS5_PT6_ll16rocsparse_order_21rocsparse_index_base_b
		.amdhsa_group_segment_fixed_size 1024
		.amdhsa_private_segment_fixed_size 0
		.amdhsa_kernarg_size 392
		.amdhsa_user_sgpr_count 14
		.amdhsa_user_sgpr_dispatch_ptr 0
		.amdhsa_user_sgpr_queue_ptr 0
		.amdhsa_user_sgpr_kernarg_segment_ptr 1
		.amdhsa_user_sgpr_dispatch_id 0
		.amdhsa_user_sgpr_private_segment_size 0
		.amdhsa_wavefront_size32 1
		.amdhsa_uses_dynamic_stack 0
		.amdhsa_enable_private_segment 0
		.amdhsa_system_sgpr_workgroup_id_x 1
		.amdhsa_system_sgpr_workgroup_id_y 1
		.amdhsa_system_sgpr_workgroup_id_z 0
		.amdhsa_system_sgpr_workgroup_info 0
		.amdhsa_system_vgpr_workitem_id 0
		.amdhsa_next_free_vgpr 46
		.amdhsa_next_free_sgpr 28
		.amdhsa_reserve_vcc 1
		.amdhsa_float_round_mode_32 0
		.amdhsa_float_round_mode_16_64 0
		.amdhsa_float_denorm_mode_32 3
		.amdhsa_float_denorm_mode_16_64 3
		.amdhsa_dx10_clamp 1
		.amdhsa_ieee_mode 1
		.amdhsa_fp16_overflow 0
		.amdhsa_workgroup_processor_mode 1
		.amdhsa_memory_ordered 1
		.amdhsa_forward_progress 0
		.amdhsa_shared_vgpr_count 0
		.amdhsa_exception_fp_ieee_invalid_op 0
		.amdhsa_exception_fp_denorm_src 0
		.amdhsa_exception_fp_ieee_div_zero 0
		.amdhsa_exception_fp_ieee_overflow 0
		.amdhsa_exception_fp_ieee_underflow 0
		.amdhsa_exception_fp_ieee_inexact 0
		.amdhsa_exception_int_div_zero 0
	.end_amdhsa_kernel
	.section	.text._ZN9rocsparseL29bsrmmnn_small_blockdim_kernelILj64ELj8ELj2EiiffffEEv20rocsparse_direction_T3_S2_llNS_24const_host_device_scalarIT7_EEPKT2_PKS2_PKT4_PKT5_llS5_PT6_ll16rocsparse_order_21rocsparse_index_base_b,"axG",@progbits,_ZN9rocsparseL29bsrmmnn_small_blockdim_kernelILj64ELj8ELj2EiiffffEEv20rocsparse_direction_T3_S2_llNS_24const_host_device_scalarIT7_EEPKT2_PKS2_PKT4_PKT5_llS5_PT6_ll16rocsparse_order_21rocsparse_index_base_b,comdat
.Lfunc_end0:
	.size	_ZN9rocsparseL29bsrmmnn_small_blockdim_kernelILj64ELj8ELj2EiiffffEEv20rocsparse_direction_T3_S2_llNS_24const_host_device_scalarIT7_EEPKT2_PKS2_PKT4_PKT5_llS5_PT6_ll16rocsparse_order_21rocsparse_index_base_b, .Lfunc_end0-_ZN9rocsparseL29bsrmmnn_small_blockdim_kernelILj64ELj8ELj2EiiffffEEv20rocsparse_direction_T3_S2_llNS_24const_host_device_scalarIT7_EEPKT2_PKS2_PKT4_PKT5_llS5_PT6_ll16rocsparse_order_21rocsparse_index_base_b
                                        ; -- End function
	.section	.AMDGPU.csdata,"",@progbits
; Kernel info:
; codeLenInByte = 1700
; NumSgprs: 30
; NumVgprs: 46
; ScratchSize: 0
; MemoryBound: 0
; FloatMode: 240
; IeeeMode: 1
; LDSByteSize: 1024 bytes/workgroup (compile time only)
; SGPRBlocks: 3
; VGPRBlocks: 5
; NumSGPRsForWavesPerEU: 30
; NumVGPRsForWavesPerEU: 46
; Occupancy: 16
; WaveLimiterHint : 0
; COMPUTE_PGM_RSRC2:SCRATCH_EN: 0
; COMPUTE_PGM_RSRC2:USER_SGPR: 14
; COMPUTE_PGM_RSRC2:TRAP_HANDLER: 0
; COMPUTE_PGM_RSRC2:TGID_X_EN: 1
; COMPUTE_PGM_RSRC2:TGID_Y_EN: 1
; COMPUTE_PGM_RSRC2:TGID_Z_EN: 0
; COMPUTE_PGM_RSRC2:TIDIG_COMP_CNT: 0
	.section	.text._ZN9rocsparseL29bsrmmnn_small_blockdim_kernelILj64ELj8ELj2EliffffEEv20rocsparse_direction_T3_S2_llNS_24const_host_device_scalarIT7_EEPKT2_PKS2_PKT4_PKT5_llS5_PT6_ll16rocsparse_order_21rocsparse_index_base_b,"axG",@progbits,_ZN9rocsparseL29bsrmmnn_small_blockdim_kernelILj64ELj8ELj2EliffffEEv20rocsparse_direction_T3_S2_llNS_24const_host_device_scalarIT7_EEPKT2_PKS2_PKT4_PKT5_llS5_PT6_ll16rocsparse_order_21rocsparse_index_base_b,comdat
	.globl	_ZN9rocsparseL29bsrmmnn_small_blockdim_kernelILj64ELj8ELj2EliffffEEv20rocsparse_direction_T3_S2_llNS_24const_host_device_scalarIT7_EEPKT2_PKS2_PKT4_PKT5_llS5_PT6_ll16rocsparse_order_21rocsparse_index_base_b ; -- Begin function _ZN9rocsparseL29bsrmmnn_small_blockdim_kernelILj64ELj8ELj2EliffffEEv20rocsparse_direction_T3_S2_llNS_24const_host_device_scalarIT7_EEPKT2_PKS2_PKT4_PKT5_llS5_PT6_ll16rocsparse_order_21rocsparse_index_base_b
	.p2align	8
	.type	_ZN9rocsparseL29bsrmmnn_small_blockdim_kernelILj64ELj8ELj2EliffffEEv20rocsparse_direction_T3_S2_llNS_24const_host_device_scalarIT7_EEPKT2_PKS2_PKT4_PKT5_llS5_PT6_ll16rocsparse_order_21rocsparse_index_base_b,@function
_ZN9rocsparseL29bsrmmnn_small_blockdim_kernelILj64ELj8ELj2EliffffEEv20rocsparse_direction_T3_S2_llNS_24const_host_device_scalarIT7_EEPKT2_PKS2_PKT4_PKT5_llS5_PT6_ll16rocsparse_order_21rocsparse_index_base_b: ; @_ZN9rocsparseL29bsrmmnn_small_blockdim_kernelILj64ELj8ELj2EliffffEEv20rocsparse_direction_T3_S2_llNS_24const_host_device_scalarIT7_EEPKT2_PKS2_PKT4_PKT5_llS5_PT6_ll16rocsparse_order_21rocsparse_index_base_b
; %bb.0:
	s_clause 0x2
	s_load_b128 s[16:19], s[0:1], 0x78
	s_load_b64 s[2:3], s[0:1], 0x20
	s_load_b64 s[12:13], s[0:1], 0x58
	s_waitcnt lgkmcnt(0)
	s_bitcmp1_b32 s18, 0
	s_cselect_b32 s4, -1, 0
	s_delay_alu instid0(SALU_CYCLE_1)
	s_and_b32 vcc_lo, exec_lo, s4
	s_xor_b32 s4, s4, -1
	s_cbranch_vccnz .LBB1_2
; %bb.1:
	s_load_b32 s2, s[2:3], 0x0
.LBB1_2:
	s_and_not1_b32 vcc_lo, exec_lo, s4
	s_cbranch_vccnz .LBB1_4
; %bb.3:
	s_load_b32 s12, s[12:13], 0x0
.LBB1_4:
	s_waitcnt lgkmcnt(0)
	v_cmp_eq_f32_e64 s3, s2, 0
	v_cmp_eq_f32_e64 s4, s12, 1.0
	s_delay_alu instid0(VALU_DEP_1) | instskip(NEXT) | instid1(SALU_CYCLE_1)
	s_and_b32 s3, s3, s4
	s_and_b32 vcc_lo, exec_lo, s3
	s_cbranch_vccnz .LBB1_28
; %bb.5:
	s_clause 0x1
	s_load_b32 s3, s[0:1], 0x88
	s_load_b128 s[20:23], s[0:1], 0x0
	s_add_u32 s4, s0, 0x88
	s_addc_u32 s5, s1, 0
	v_mov_b32_e32 v5, 0
	s_waitcnt lgkmcnt(0)
	s_cmp_lt_u32 s14, s3
	s_cselect_b32 s6, 12, 18
	s_delay_alu instid0(SALU_CYCLE_1)
	s_add_u32 s4, s4, s6
	s_addc_u32 s5, s5, 0
	global_load_u16 v3, v5, s[4:5]
	s_mov_b32 s4, exec_lo
	s_waitcnt vmcnt(0)
	v_mad_u64_u32 v[1:2], null, s14, v3, v[0:1]
	s_delay_alu instid0(VALU_DEP_1) | instskip(NEXT) | instid1(VALU_DEP_1)
	v_lshrrev_b32_e32 v4, 4, v1
	v_cmpx_gt_i32_e64 s21, v4
	s_cbranch_execz .LBB1_28
; %bb.6:
	s_clause 0x2
	s_load_b128 s[24:27], s[0:1], 0x60
	s_load_b64 s[18:19], s[0:1], 0x48
	s_load_b256 s[4:11], s[0:1], 0x28
	v_lshrrev_b32_e32 v13, 3, v1
	v_mul_lo_u32 v6, s3, v3
	v_lshrrev_b32_e32 v12, 3, v0
	v_bfe_u32 v14, v1, 3, 1
	s_cmp_lg_u32 s16, 1
	v_cmp_neq_f32_e64 s3, s12, 0
	s_cselect_b32 s13, -1, 0
	s_cmp_eq_u32 s20, 0
	v_lshl_or_b32 v17, v12, 5, 0x300
	v_lshrrev_b32_e32 v19, 4, v6
	s_cselect_b32 s1, -1, 0
	v_mul_u32_u24_e32 v18, 0x60, v12
	s_waitcnt lgkmcnt(0)
	v_mad_u64_u32 v[2:3], null, v13, s26, 0
	s_delay_alu instid0(VALU_DEP_1) | instskip(NEXT) | instid1(VALU_DEP_1)
	v_mad_u64_u32 v[10:11], null, v13, s27, v[3:4]
	v_dual_mov_b32 v3, v10 :: v_dual_and_b32 v16, 7, v1
	s_delay_alu instid0(VALU_DEP_1) | instskip(SKIP_2) | instid1(VALU_DEP_4)
	v_lshl_or_b32 v0, s15, 3, v16
	v_mul_u32_u24_e32 v7, 3, v16
	v_lshl_or_b32 v20, v16, 2, v17
	v_lshlrev_b64 v[2:3], 2, v[2:3]
	s_delay_alu instid0(VALU_DEP_4) | instskip(NEXT) | instid1(VALU_DEP_4)
	v_ashrrev_i32_e32 v1, 31, v0
	v_lshlrev_b32_e32 v15, 2, v7
	v_mul_lo_u32 v22, v0, s19
	v_mad_u64_u32 v[6:7], null, v0, s18, 0
	s_delay_alu instid0(VALU_DEP_4)
	v_mul_lo_u32 v21, v1, s18
	v_mul_lo_u32 v23, v1, s26
	;; [unrolled: 1-line block ×3, first 2 shown]
	v_mad_u64_u32 v[8:9], null, v0, s26, 0
	v_cmp_gt_i32_e64 s0, s22, v0
	v_lshlrev_b64 v[0:1], 2, v[0:1]
	v_add3_u32 v7, v7, v22, v21
	v_mad_u32_u24 v21, 0x60, v12, v15
	v_add3_u32 v9, v9, v24, v23
	s_delay_alu instid0(VALU_DEP_4) | instskip(NEXT) | instid1(VALU_DEP_4)
	v_add_co_u32 v10, vcc_lo, s24, v0
	v_lshlrev_b64 v[6:7], 2, v[6:7]
	v_add_co_ci_u32_e32 v11, vcc_lo, s25, v1, vcc_lo
	s_delay_alu instid0(VALU_DEP_4) | instskip(NEXT) | instid1(VALU_DEP_3)
	v_lshlrev_b64 v[0:1], 2, v[8:9]
	v_add_co_u32 v22, vcc_lo, s10, v6
	s_delay_alu instid0(VALU_DEP_4)
	v_add_co_ci_u32_e32 v23, vcc_lo, s11, v7, vcc_lo
	v_add_co_u32 v6, vcc_lo, v10, v2
	v_add_co_ci_u32_e32 v7, vcc_lo, v11, v3, vcc_lo
	v_cndmask_b32_e64 v3, 0, 1, s1
	v_lshlrev_b32_e32 v2, 2, v13
	v_add_co_u32 v0, vcc_lo, s24, v0
	v_add_co_ci_u32_e32 v1, vcc_lo, s25, v1, vcc_lo
	s_delay_alu instid0(VALU_DEP_4) | instskip(NEXT) | instid1(VALU_DEP_3)
	v_lshlrev_b32_e32 v3, v3, v14
	v_add_co_u32 v8, vcc_lo, v0, v2
	s_and_b32 s1, s1, exec_lo
	s_cselect_b32 s1, 1, 2
	s_delay_alu instid0(VALU_DEP_2) | instskip(SKIP_1) | instid1(VALU_DEP_1)
	v_lshlrev_b32_e32 v0, 2, v3
	v_sub_co_u32 v24, s10, v16, s17
	v_sub_co_ci_u32_e64 v25, null, 0, 0, s10
	s_delay_alu instid0(VALU_DEP_3)
	v_add_co_u32 v26, s10, s8, v0
	v_add_co_u32 v28, s1, s1, v3
	v_add_co_ci_u32_e32 v9, vcc_lo, 0, v1, vcc_lo
	v_add_co_ci_u32_e64 v27, null, s9, 0, s10
	v_add_co_ci_u32_e64 v29, null, 0, 0, s1
	s_mov_b32 s10, 0
	s_mov_b32 s11, s17
	s_branch .LBB1_8
.LBB1_7:                                ;   in Loop: Header=BB1_8 Depth=1
	s_or_b32 exec_lo, exec_lo, s1
	v_add_nc_u32_e32 v4, v4, v19
	s_delay_alu instid0(VALU_DEP_1) | instskip(SKIP_1) | instid1(SALU_CYCLE_1)
	v_cmp_le_i32_e32 vcc_lo, s21, v4
	s_or_b32 s10, vcc_lo, s10
	s_and_not1_b32 exec_lo, exec_lo, s10
	s_cbranch_execz .LBB1_28
.LBB1_8:                                ; =>This Loop Header: Depth=1
                                        ;     Child Loop BB1_11 Depth 2
	v_lshlrev_b64 v[0:1], 3, v[4:5]
	v_mov_b32_e32 v30, 0
	s_mov_b32 s14, exec_lo
	s_delay_alu instid0(VALU_DEP_2) | instskip(NEXT) | instid1(VALU_DEP_3)
	v_add_co_u32 v0, vcc_lo, s4, v0
	v_add_co_ci_u32_e32 v1, vcc_lo, s5, v1, vcc_lo
	global_load_b128 v[0:3], v[0:1], off
	s_waitcnt vmcnt(0)
	v_cmpx_lt_i64_e64 v[0:1], v[2:3]
	s_cbranch_execz .LBB1_16
; %bb.9:                                ;   in Loop: Header=BB1_8 Depth=1
	v_add_co_u32 v10, vcc_lo, v24, v0
	v_add_co_ci_u32_e32 v11, vcc_lo, v25, v1, vcc_lo
	v_sub_co_u32 v2, vcc_lo, v2, s11
	v_subrev_co_ci_u32_e32 v3, vcc_lo, 0, v3, vcc_lo
	s_delay_alu instid0(VALU_DEP_3) | instskip(SKIP_3) | instid1(VALU_DEP_4)
	v_lshlrev_b64 v[12:13], 2, v[10:11]
	v_sub_co_u32 v0, vcc_lo, v0, s11
	v_subrev_co_ci_u32_e32 v1, vcc_lo, 0, v1, vcc_lo
	v_lshlrev_b64 v[14:15], 4, v[10:11]
	v_add_co_u32 v30, vcc_lo, v28, v12
	v_add_co_ci_u32_e32 v31, vcc_lo, v29, v13, vcc_lo
	v_add_co_u32 v10, vcc_lo, s6, v12
	v_add_co_ci_u32_e32 v11, vcc_lo, s7, v13, vcc_lo
	s_delay_alu instid0(VALU_DEP_3) | instskip(SKIP_3) | instid1(VALU_DEP_3)
	v_lshlrev_b64 v[30:31], 2, v[30:31]
	v_add_co_u32 v12, vcc_lo, v26, v14
	v_add_co_ci_u32_e32 v13, vcc_lo, v27, v15, vcc_lo
	s_mov_b32 s15, 0
	v_add_co_u32 v14, vcc_lo, s8, v30
	s_delay_alu instid0(VALU_DEP_4)
	v_add_co_ci_u32_e32 v15, vcc_lo, s9, v31, vcc_lo
	v_mov_b32_e32 v30, 0
	s_branch .LBB1_11
.LBB1_10:                               ;   in Loop: Header=BB1_11 Depth=2
	s_or_b32 exec_lo, exec_lo, s1
	v_add_co_u32 v0, vcc_lo, v0, 8
	v_add_co_ci_u32_e32 v1, vcc_lo, 0, v1, vcc_lo
	v_add_co_u32 v10, vcc_lo, v10, 32
	v_add_co_ci_u32_e32 v11, vcc_lo, 0, v11, vcc_lo
	;; [unrolled: 2-line block ×3, first 2 shown]
	v_cmp_ge_i64_e32 vcc_lo, v[0:1], v[2:3]
	v_add_co_u32 v14, s1, 0x80, v14
	s_delay_alu instid0(VALU_DEP_1) | instskip(SKIP_1) | instid1(SALU_CYCLE_1)
	v_add_co_ci_u32_e64 v15, s1, 0, v15, s1
	s_or_b32 s15, vcc_lo, s15
	s_and_not1_b32 exec_lo, exec_lo, s15
	s_cbranch_execz .LBB1_15
.LBB1_11:                               ;   Parent Loop BB1_8 Depth=1
                                        ; =>  This Inner Loop Header: Depth=2
	v_add_co_u32 v33, vcc_lo, v16, v0
	v_add_co_ci_u32_e32 v34, vcc_lo, 0, v1, vcc_lo
	v_dual_mov_b32 v32, 0 :: v_dual_mov_b32 v31, 0
	s_delay_alu instid0(VALU_DEP_2)
	v_cmp_lt_i64_e32 vcc_lo, v[33:34], v[2:3]
	v_mov_b32_e32 v33, 0
	s_and_saveexec_b32 s1, vcc_lo
	s_cbranch_execz .LBB1_13
; %bb.12:                               ;   in Loop: Header=BB1_11 Depth=2
	global_load_b32 v32, v[10:11], off
	global_load_b32 v31, v[12:13], off
	;; [unrolled: 1-line block ×3, first 2 shown]
	s_waitcnt vmcnt(2)
	v_subrev_nc_u32_e32 v32, s17, v32
	s_delay_alu instid0(VALU_DEP_1)
	v_lshlrev_b32_e32 v32, 1, v32
.LBB1_13:                               ;   in Loop: Header=BB1_11 Depth=2
	s_or_b32 exec_lo, exec_lo, s1
	ds_store_b32 v20, v32
	s_waitcnt vmcnt(0)
	ds_store_2addr_b32 v21, v31, v33 offset1:1
	s_waitcnt lgkmcnt(0)
	s_waitcnt_vscnt null, 0x0
	s_barrier
	buffer_gl0_inv
	s_and_saveexec_b32 s1, s0
	s_cbranch_execz .LBB1_10
; %bb.14:                               ;   in Loop: Header=BB1_11 Depth=2
	ds_load_b128 v[31:34], v17
	ds_load_b128 v[35:38], v17 offset:16
	s_waitcnt lgkmcnt(1)
	v_ashrrev_i32_e32 v40, 31, v31
	v_mov_b32_e32 v39, v31
	v_ashrrev_i32_e32 v42, 31, v32
	v_mov_b32_e32 v41, v32
	s_delay_alu instid0(VALU_DEP_3) | instskip(SKIP_1) | instid1(VALU_DEP_3)
	v_lshlrev_b64 v[31:32], 2, v[39:40]
	v_ashrrev_i32_e32 v40, 31, v33
	v_lshlrev_b64 v[41:42], 2, v[41:42]
	v_mov_b32_e32 v39, v33
	s_delay_alu instid0(VALU_DEP_4) | instskip(SKIP_1) | instid1(VALU_DEP_4)
	v_add_co_u32 v31, vcc_lo, v22, v31
	v_add_co_ci_u32_e32 v32, vcc_lo, v23, v32, vcc_lo
	v_add_co_u32 v41, vcc_lo, v22, v41
	v_add_co_ci_u32_e32 v42, vcc_lo, v23, v42, vcc_lo
	global_load_b64 v[43:44], v[31:32], off
	v_lshlrev_b64 v[31:32], 2, v[39:40]
	global_load_b64 v[39:40], v[41:42], off
	v_ashrrev_i32_e32 v42, 31, v34
	v_mov_b32_e32 v41, v34
	v_add_co_u32 v31, vcc_lo, v22, v31
	v_add_co_ci_u32_e32 v32, vcc_lo, v23, v32, vcc_lo
	s_delay_alu instid0(VALU_DEP_3)
	v_lshlrev_b64 v[33:34], 2, v[41:42]
	global_load_b64 v[41:42], v[31:32], off
	v_add_co_u32 v33, vcc_lo, v22, v33
	v_add_co_ci_u32_e32 v34, vcc_lo, v23, v34, vcc_lo
	global_load_b64 v[45:46], v[33:34], off
	s_waitcnt lgkmcnt(0)
	v_ashrrev_i32_e32 v32, 31, v35
	v_mov_b32_e32 v31, v35
	v_ashrrev_i32_e32 v34, 31, v36
	v_mov_b32_e32 v33, v36
	s_delay_alu instid0(VALU_DEP_3) | instskip(NEXT) | instid1(VALU_DEP_2)
	v_lshlrev_b64 v[31:32], 2, v[31:32]
	v_lshlrev_b64 v[33:34], 2, v[33:34]
	s_delay_alu instid0(VALU_DEP_2) | instskip(NEXT) | instid1(VALU_DEP_3)
	v_add_co_u32 v31, vcc_lo, v22, v31
	v_add_co_ci_u32_e32 v32, vcc_lo, v23, v32, vcc_lo
	s_delay_alu instid0(VALU_DEP_3) | instskip(NEXT) | instid1(VALU_DEP_4)
	v_add_co_u32 v33, vcc_lo, v22, v33
	v_add_co_ci_u32_e32 v34, vcc_lo, v23, v34, vcc_lo
	s_clause 0x1
	global_load_b64 v[47:48], v[31:32], off
	global_load_b64 v[49:50], v[33:34], off
	v_ashrrev_i32_e32 v32, 31, v37
	v_mov_b32_e32 v31, v37
	v_ashrrev_i32_e32 v34, 31, v38
	v_mov_b32_e32 v33, v38
	s_delay_alu instid0(VALU_DEP_3) | instskip(NEXT) | instid1(VALU_DEP_2)
	v_lshlrev_b64 v[31:32], 2, v[31:32]
	v_lshlrev_b64 v[33:34], 2, v[33:34]
	s_delay_alu instid0(VALU_DEP_2) | instskip(NEXT) | instid1(VALU_DEP_3)
	v_add_co_u32 v31, vcc_lo, v22, v31
	v_add_co_ci_u32_e32 v32, vcc_lo, v23, v32, vcc_lo
	global_load_b64 v[51:52], v[31:32], off
	v_add_co_u32 v31, vcc_lo, v22, v33
	v_add_co_ci_u32_e32 v32, vcc_lo, v23, v34, vcc_lo
	global_load_b64 v[53:54], v[31:32], off
	ds_load_2addr_b64 v[31:34], v18 offset1:3
	ds_load_2addr_b32 v[35:36], v18 offset0:3 offset1:4
	s_waitcnt vmcnt(7) lgkmcnt(1)
	v_fmac_f32_e32 v30, v31, v43
	s_delay_alu instid0(VALU_DEP_1)
	v_fmac_f32_e32 v30, v32, v44
	ds_load_2addr_b32 v[31:32], v18 offset0:9 offset1:10
	ds_load_2addr_b32 v[43:44], v18 offset0:15 offset1:16
	;; [unrolled: 1-line block ×3, first 2 shown]
	s_waitcnt vmcnt(6) lgkmcnt(3)
	v_fmac_f32_e32 v30, v35, v39
	s_delay_alu instid0(VALU_DEP_1) | instskip(SKIP_3) | instid1(VALU_DEP_1)
	v_fmac_f32_e32 v30, v36, v40
	ds_load_2addr_b64 v[35:38], v18 offset0:6 offset1:9
	s_waitcnt vmcnt(5)
	v_fmac_f32_e32 v30, v33, v41
	v_fmac_f32_e32 v30, v34, v42
	s_waitcnt vmcnt(4) lgkmcnt(3)
	s_delay_alu instid0(VALU_DEP_1) | instskip(NEXT) | instid1(VALU_DEP_1)
	v_fmac_f32_e32 v30, v31, v45
	v_fmac_f32_e32 v30, v32, v46
	s_waitcnt vmcnt(3) lgkmcnt(0)
	s_delay_alu instid0(VALU_DEP_1) | instskip(NEXT) | instid1(VALU_DEP_1)
	v_fmac_f32_e32 v30, v35, v47
	v_fmac_f32_e32 v30, v36, v48
	s_waitcnt vmcnt(2)
	s_delay_alu instid0(VALU_DEP_1) | instskip(NEXT) | instid1(VALU_DEP_1)
	v_fmac_f32_e32 v30, v43, v49
	v_fmac_f32_e32 v30, v44, v50
	s_waitcnt vmcnt(1)
	;; [unrolled: 4-line block ×3, first 2 shown]
	s_delay_alu instid0(VALU_DEP_1) | instskip(NEXT) | instid1(VALU_DEP_1)
	v_fmac_f32_e32 v30, v55, v53
	v_fmac_f32_e32 v30, v56, v54
	s_branch .LBB1_10
.LBB1_15:                               ;   in Loop: Header=BB1_8 Depth=1
	s_or_b32 exec_lo, exec_lo, s15
.LBB1_16:                               ;   in Loop: Header=BB1_8 Depth=1
	s_delay_alu instid0(SALU_CYCLE_1)
	s_or_b32 exec_lo, exec_lo, s14
	s_and_saveexec_b32 s1, s0
	s_cbranch_execz .LBB1_7
; %bb.17:                               ;   in Loop: Header=BB1_8 Depth=1
	v_mul_f32_e32 v0, s2, v30
	s_and_b32 vcc_lo, exec_lo, s3
	s_cbranch_vccz .LBB1_23
; %bb.18:                               ;   in Loop: Header=BB1_8 Depth=1
	s_and_b32 vcc_lo, exec_lo, s13
	s_mov_b32 s14, -1
	s_cbranch_vccz .LBB1_20
; %bb.19:                               ;   in Loop: Header=BB1_8 Depth=1
	global_load_b32 v1, v[6:7], off
	s_mov_b32 s14, 0
	s_waitcnt vmcnt(0)
	v_fma_f32 v1, s12, v1, v0
	global_store_b32 v[6:7], v1, off
.LBB1_20:                               ;   in Loop: Header=BB1_8 Depth=1
	s_and_not1_b32 vcc_lo, exec_lo, s14
	s_cbranch_vccnz .LBB1_22
; %bb.21:                               ;   in Loop: Header=BB1_8 Depth=1
	global_load_b32 v1, v[8:9], off
	s_waitcnt vmcnt(0)
	v_fma_f32 v1, s12, v1, v0
	global_store_b32 v[8:9], v1, off
.LBB1_22:                               ;   in Loop: Header=BB1_8 Depth=1
	s_cbranch_execnz .LBB1_7
	s_branch .LBB1_24
.LBB1_23:                               ;   in Loop: Header=BB1_8 Depth=1
.LBB1_24:                               ;   in Loop: Header=BB1_8 Depth=1
	s_and_b32 vcc_lo, exec_lo, s13
	s_mov_b32 s14, -1
	s_cbranch_vccz .LBB1_26
; %bb.25:                               ;   in Loop: Header=BB1_8 Depth=1
	s_mov_b32 s14, 0
	global_store_b32 v[6:7], v0, off
.LBB1_26:                               ;   in Loop: Header=BB1_8 Depth=1
	s_and_not1_b32 vcc_lo, exec_lo, s14
	s_cbranch_vccnz .LBB1_7
; %bb.27:                               ;   in Loop: Header=BB1_8 Depth=1
	global_store_b32 v[8:9], v0, off
	s_branch .LBB1_7
.LBB1_28:
	s_nop 0
	s_sendmsg sendmsg(MSG_DEALLOC_VGPRS)
	s_endpgm
	.section	.rodata,"a",@progbits
	.p2align	6, 0x0
	.amdhsa_kernel _ZN9rocsparseL29bsrmmnn_small_blockdim_kernelILj64ELj8ELj2EliffffEEv20rocsparse_direction_T3_S2_llNS_24const_host_device_scalarIT7_EEPKT2_PKS2_PKT4_PKT5_llS5_PT6_ll16rocsparse_order_21rocsparse_index_base_b
		.amdhsa_group_segment_fixed_size 1024
		.amdhsa_private_segment_fixed_size 0
		.amdhsa_kernarg_size 392
		.amdhsa_user_sgpr_count 14
		.amdhsa_user_sgpr_dispatch_ptr 0
		.amdhsa_user_sgpr_queue_ptr 0
		.amdhsa_user_sgpr_kernarg_segment_ptr 1
		.amdhsa_user_sgpr_dispatch_id 0
		.amdhsa_user_sgpr_private_segment_size 0
		.amdhsa_wavefront_size32 1
		.amdhsa_uses_dynamic_stack 0
		.amdhsa_enable_private_segment 0
		.amdhsa_system_sgpr_workgroup_id_x 1
		.amdhsa_system_sgpr_workgroup_id_y 1
		.amdhsa_system_sgpr_workgroup_id_z 0
		.amdhsa_system_sgpr_workgroup_info 0
		.amdhsa_system_vgpr_workitem_id 0
		.amdhsa_next_free_vgpr 57
		.amdhsa_next_free_sgpr 28
		.amdhsa_reserve_vcc 1
		.amdhsa_float_round_mode_32 0
		.amdhsa_float_round_mode_16_64 0
		.amdhsa_float_denorm_mode_32 3
		.amdhsa_float_denorm_mode_16_64 3
		.amdhsa_dx10_clamp 1
		.amdhsa_ieee_mode 1
		.amdhsa_fp16_overflow 0
		.amdhsa_workgroup_processor_mode 1
		.amdhsa_memory_ordered 1
		.amdhsa_forward_progress 0
		.amdhsa_shared_vgpr_count 0
		.amdhsa_exception_fp_ieee_invalid_op 0
		.amdhsa_exception_fp_denorm_src 0
		.amdhsa_exception_fp_ieee_div_zero 0
		.amdhsa_exception_fp_ieee_overflow 0
		.amdhsa_exception_fp_ieee_underflow 0
		.amdhsa_exception_fp_ieee_inexact 0
		.amdhsa_exception_int_div_zero 0
	.end_amdhsa_kernel
	.section	.text._ZN9rocsparseL29bsrmmnn_small_blockdim_kernelILj64ELj8ELj2EliffffEEv20rocsparse_direction_T3_S2_llNS_24const_host_device_scalarIT7_EEPKT2_PKS2_PKT4_PKT5_llS5_PT6_ll16rocsparse_order_21rocsparse_index_base_b,"axG",@progbits,_ZN9rocsparseL29bsrmmnn_small_blockdim_kernelILj64ELj8ELj2EliffffEEv20rocsparse_direction_T3_S2_llNS_24const_host_device_scalarIT7_EEPKT2_PKS2_PKT4_PKT5_llS5_PT6_ll16rocsparse_order_21rocsparse_index_base_b,comdat
.Lfunc_end1:
	.size	_ZN9rocsparseL29bsrmmnn_small_blockdim_kernelILj64ELj8ELj2EliffffEEv20rocsparse_direction_T3_S2_llNS_24const_host_device_scalarIT7_EEPKT2_PKS2_PKT4_PKT5_llS5_PT6_ll16rocsparse_order_21rocsparse_index_base_b, .Lfunc_end1-_ZN9rocsparseL29bsrmmnn_small_blockdim_kernelILj64ELj8ELj2EliffffEEv20rocsparse_direction_T3_S2_llNS_24const_host_device_scalarIT7_EEPKT2_PKS2_PKT4_PKT5_llS5_PT6_ll16rocsparse_order_21rocsparse_index_base_b
                                        ; -- End function
	.section	.AMDGPU.csdata,"",@progbits
; Kernel info:
; codeLenInByte = 1812
; NumSgprs: 30
; NumVgprs: 57
; ScratchSize: 0
; MemoryBound: 0
; FloatMode: 240
; IeeeMode: 1
; LDSByteSize: 1024 bytes/workgroup (compile time only)
; SGPRBlocks: 3
; VGPRBlocks: 7
; NumSGPRsForWavesPerEU: 30
; NumVGPRsForWavesPerEU: 57
; Occupancy: 16
; WaveLimiterHint : 0
; COMPUTE_PGM_RSRC2:SCRATCH_EN: 0
; COMPUTE_PGM_RSRC2:USER_SGPR: 14
; COMPUTE_PGM_RSRC2:TRAP_HANDLER: 0
; COMPUTE_PGM_RSRC2:TGID_X_EN: 1
; COMPUTE_PGM_RSRC2:TGID_Y_EN: 1
; COMPUTE_PGM_RSRC2:TGID_Z_EN: 0
; COMPUTE_PGM_RSRC2:TIDIG_COMP_CNT: 0
	.section	.text._ZN9rocsparseL29bsrmmnn_small_blockdim_kernelILj64ELj8ELj2EllffffEEv20rocsparse_direction_T3_S2_llNS_24const_host_device_scalarIT7_EEPKT2_PKS2_PKT4_PKT5_llS5_PT6_ll16rocsparse_order_21rocsparse_index_base_b,"axG",@progbits,_ZN9rocsparseL29bsrmmnn_small_blockdim_kernelILj64ELj8ELj2EllffffEEv20rocsparse_direction_T3_S2_llNS_24const_host_device_scalarIT7_EEPKT2_PKS2_PKT4_PKT5_llS5_PT6_ll16rocsparse_order_21rocsparse_index_base_b,comdat
	.globl	_ZN9rocsparseL29bsrmmnn_small_blockdim_kernelILj64ELj8ELj2EllffffEEv20rocsparse_direction_T3_S2_llNS_24const_host_device_scalarIT7_EEPKT2_PKS2_PKT4_PKT5_llS5_PT6_ll16rocsparse_order_21rocsparse_index_base_b ; -- Begin function _ZN9rocsparseL29bsrmmnn_small_blockdim_kernelILj64ELj8ELj2EllffffEEv20rocsparse_direction_T3_S2_llNS_24const_host_device_scalarIT7_EEPKT2_PKS2_PKT4_PKT5_llS5_PT6_ll16rocsparse_order_21rocsparse_index_base_b
	.p2align	8
	.type	_ZN9rocsparseL29bsrmmnn_small_blockdim_kernelILj64ELj8ELj2EllffffEEv20rocsparse_direction_T3_S2_llNS_24const_host_device_scalarIT7_EEPKT2_PKS2_PKT4_PKT5_llS5_PT6_ll16rocsparse_order_21rocsparse_index_base_b,@function
_ZN9rocsparseL29bsrmmnn_small_blockdim_kernelILj64ELj8ELj2EllffffEEv20rocsparse_direction_T3_S2_llNS_24const_host_device_scalarIT7_EEPKT2_PKS2_PKT4_PKT5_llS5_PT6_ll16rocsparse_order_21rocsparse_index_base_b: ; @_ZN9rocsparseL29bsrmmnn_small_blockdim_kernelILj64ELj8ELj2EllffffEEv20rocsparse_direction_T3_S2_llNS_24const_host_device_scalarIT7_EEPKT2_PKS2_PKT4_PKT5_llS5_PT6_ll16rocsparse_order_21rocsparse_index_base_b
; %bb.0:
	s_clause 0x2
	s_load_b128 s[20:23], s[0:1], 0x80
	s_load_b64 s[2:3], s[0:1], 0x28
	s_load_b64 s[12:13], s[0:1], 0x60
	s_waitcnt lgkmcnt(0)
	s_bitcmp1_b32 s22, 0
	s_cselect_b32 s4, -1, 0
	s_delay_alu instid0(SALU_CYCLE_1)
	s_and_b32 vcc_lo, exec_lo, s4
	s_xor_b32 s4, s4, -1
	s_cbranch_vccnz .LBB2_2
; %bb.1:
	s_load_b32 s2, s[2:3], 0x0
.LBB2_2:
	s_and_not1_b32 vcc_lo, exec_lo, s4
	s_cbranch_vccnz .LBB2_4
; %bb.3:
	s_load_b32 s12, s[12:13], 0x0
.LBB2_4:
	s_waitcnt lgkmcnt(0)
	v_cmp_eq_f32_e64 s3, s2, 0
	v_cmp_eq_f32_e64 s4, s12, 1.0
	s_delay_alu instid0(VALU_DEP_1) | instskip(NEXT) | instid1(SALU_CYCLE_1)
	s_and_b32 s3, s3, s4
	s_and_b32 vcc_lo, exec_lo, s3
	s_cbranch_vccnz .LBB2_28
; %bb.5:
	s_clause 0x1
	s_load_b32 s13, s[0:1], 0x90
	s_load_b128 s[16:19], s[0:1], 0x8
	s_add_u32 s3, s0, 0x90
	s_addc_u32 s5, s1, 0
	v_mov_b32_e32 v5, 0
	s_waitcnt lgkmcnt(0)
	s_cmp_lt_u32 s14, s13
	s_cselect_b32 s4, 12, 18
	s_delay_alu instid0(SALU_CYCLE_1)
	s_add_u32 s4, s3, s4
	s_addc_u32 s5, s5, 0
	s_mov_b32 s3, 0
	global_load_u16 v3, v5, s[4:5]
	s_mov_b32 s4, exec_lo
	s_waitcnt vmcnt(0)
	v_mad_u64_u32 v[1:2], null, s14, v3, v[0:1]
	s_delay_alu instid0(VALU_DEP_1) | instskip(NEXT) | instid1(VALU_DEP_1)
	v_lshrrev_b32_e32 v4, 4, v1
	v_cmpx_gt_i64_e64 s[16:17], v[4:5]
	s_cbranch_execz .LBB2_28
; %bb.6:
	s_clause 0x2
	s_load_b128 s[24:27], s[0:1], 0x68
	s_load_b256 s[4:11], s[0:1], 0x30
	s_load_b64 s[22:23], s[0:1], 0x50
	v_lshrrev_b32_e32 v16, 3, v1
	v_dual_mov_b32 v11, v5 :: v_dual_and_b32 v18, 7, v1
	v_bfe_u32 v10, v1, 3, 1
	v_mul_lo_u32 v3, s13, v3
	v_lshrrev_b32_e32 v17, 3, v0
	s_delay_alu instid0(VALU_DEP_4)
	v_lshl_or_b32 v1, s15, 3, v18
	v_mul_u32_u24_e32 v22, 3, v18
	v_mov_b32_e32 v2, v5
	s_load_b32 s1, s[0:1], 0x0
	s_cmp_lg_u32 s20, 1
	v_lshl_add_u32 v19, v17, 6, 0x300
	v_lshrrev_b32_e32 v21, 4, v3
	v_lshlrev_b32_e32 v3, 2, v22
	v_cmp_gt_i64_e64 s0, s[18:19], v[1:2]
	s_cselect_b32 s14, -1, 0
	v_cmp_neq_f32_e64 s13, s12, 0
	s_waitcnt lgkmcnt(0)
	v_mad_u64_u32 v[6:7], null, v16, s26, 0
	v_mad_u64_u32 v[12:13], null, v1, s26, 0
	;; [unrolled: 1-line block ×3, first 2 shown]
	v_mad_u32_u24 v23, 0x60, v17, v3
	v_mul_u32_u24_e32 v20, 0x60, v17
	v_mov_b32_e32 v0, v7
	v_lshl_or_b32 v22, v18, 3, v19
	s_cmp_eq_u32 s1, 0
	s_delay_alu instid0(VALU_DEP_2) | instskip(SKIP_2) | instid1(VALU_DEP_3)
	v_mad_u64_u32 v[14:15], null, v16, s27, v[0:1]
	v_lshlrev_b32_e32 v26, 2, v16
	v_lshlrev_b64 v[15:16], 2, v[1:2]
	v_dual_mov_b32 v2, v13 :: v_dual_mov_b32 v7, v14
	s_delay_alu instid0(VALU_DEP_1) | instskip(SKIP_1) | instid1(VALU_DEP_4)
	v_mad_u64_u32 v[24:25], null, v1, s27, v[2:3]
	v_mov_b32_e32 v0, v9
	v_add_co_u32 v2, vcc_lo, s24, v15
	v_add_co_ci_u32_e32 v3, vcc_lo, s25, v16, vcc_lo
	s_delay_alu instid0(VALU_DEP_3) | instskip(SKIP_1) | instid1(VALU_DEP_2)
	v_mad_u64_u32 v[13:14], null, v1, s23, v[0:1]
	v_lshlrev_b64 v[0:1], 2, v[6:7]
	v_mov_b32_e32 v9, v13
	v_mov_b32_e32 v13, v24
	s_delay_alu instid0(VALU_DEP_3) | instskip(NEXT) | instid1(VALU_DEP_4)
	v_add_co_u32 v6, vcc_lo, v2, v0
	v_add_co_ci_u32_e32 v7, vcc_lo, v3, v1, vcc_lo
	s_delay_alu instid0(VALU_DEP_3) | instskip(SKIP_1) | instid1(VALU_DEP_1)
	v_lshlrev_b64 v[0:1], 2, v[12:13]
	v_add_co_u32 v12, s1, s24, v26
	v_add_co_ci_u32_e64 v13, null, s25, 0, s1
	s_cselect_b32 s1, -1, 0
	v_lshlrev_b64 v[2:3], 2, v[8:9]
	v_cndmask_b32_e64 v14, 0, 1, s1
	v_add_co_u32 v8, vcc_lo, v12, v0
	v_add_co_ci_u32_e32 v9, vcc_lo, v13, v1, vcc_lo
	s_delay_alu instid0(VALU_DEP_3) | instskip(SKIP_3) | instid1(VALU_DEP_3)
	v_lshlrev_b64 v[0:1], v14, v[10:11]
	v_add_co_u32 v24, vcc_lo, s10, v2
	v_add_co_ci_u32_e32 v25, vcc_lo, s11, v3, vcc_lo
	s_and_b32 s1, s1, exec_lo
	v_lshlrev_b64 v[2:3], 2, v[0:1]
	s_cselect_b32 s1, 1, 2
	v_sub_co_u32 v26, s10, v18, s21
	s_delay_alu instid0(VALU_DEP_1) | instskip(NEXT) | instid1(VALU_DEP_3)
	v_sub_co_ci_u32_e64 v27, null, 0, 0, s10
	v_add_co_u32 v28, vcc_lo, s8, v2
	s_delay_alu instid0(VALU_DEP_4)
	v_add_co_ci_u32_e32 v29, vcc_lo, s9, v3, vcc_lo
	v_add_co_u32 v30, vcc_lo, s1, v0
	v_add_co_ci_u32_e32 v31, vcc_lo, 0, v1, vcc_lo
	s_mov_b32 s10, s21
	s_branch .LBB2_8
.LBB2_7:                                ;   in Loop: Header=BB2_8 Depth=1
	s_or_b32 exec_lo, exec_lo, s1
	v_add_co_u32 v4, vcc_lo, v4, v21
	v_add_co_ci_u32_e32 v5, vcc_lo, 0, v5, vcc_lo
	s_delay_alu instid0(VALU_DEP_1) | instskip(SKIP_1) | instid1(SALU_CYCLE_1)
	v_cmp_le_i64_e32 vcc_lo, s[16:17], v[4:5]
	s_or_b32 s3, vcc_lo, s3
	s_and_not1_b32 exec_lo, exec_lo, s3
	s_cbranch_execz .LBB2_28
.LBB2_8:                                ; =>This Loop Header: Depth=1
                                        ;     Child Loop BB2_11 Depth 2
	v_lshlrev_b64 v[0:1], 3, v[4:5]
	v_mov_b32_e32 v32, 0
	s_mov_b32 s11, exec_lo
	s_delay_alu instid0(VALU_DEP_2) | instskip(NEXT) | instid1(VALU_DEP_3)
	v_add_co_u32 v0, vcc_lo, s4, v0
	v_add_co_ci_u32_e32 v1, vcc_lo, s5, v1, vcc_lo
	global_load_b128 v[0:3], v[0:1], off
	s_waitcnt vmcnt(0)
	v_cmpx_lt_i64_e64 v[0:1], v[2:3]
	s_cbranch_execz .LBB2_16
; %bb.9:                                ;   in Loop: Header=BB2_8 Depth=1
	v_add_co_u32 v10, vcc_lo, v26, v0
	v_add_co_ci_u32_e32 v11, vcc_lo, v27, v1, vcc_lo
	v_sub_co_u32 v2, vcc_lo, v2, s10
	v_subrev_co_ci_u32_e32 v3, vcc_lo, 0, v3, vcc_lo
	s_delay_alu instid0(VALU_DEP_3) | instskip(SKIP_3) | instid1(VALU_DEP_4)
	v_lshlrev_b64 v[12:13], 2, v[10:11]
	v_sub_co_u32 v0, vcc_lo, v0, s10
	v_subrev_co_ci_u32_e32 v1, vcc_lo, 0, v1, vcc_lo
	v_lshlrev_b64 v[14:15], 3, v[10:11]
	v_add_co_u32 v12, vcc_lo, v30, v12
	v_add_co_ci_u32_e32 v13, vcc_lo, v31, v13, vcc_lo
	v_lshlrev_b64 v[16:17], 4, v[10:11]
	s_delay_alu instid0(VALU_DEP_4) | instskip(SKIP_1) | instid1(VALU_DEP_4)
	v_add_co_u32 v10, vcc_lo, s6, v14
	v_add_co_ci_u32_e32 v11, vcc_lo, s7, v15, vcc_lo
	v_lshlrev_b64 v[14:15], 2, v[12:13]
	s_delay_alu instid0(VALU_DEP_4) | instskip(SKIP_2) | instid1(VALU_DEP_4)
	v_add_co_u32 v12, vcc_lo, v28, v16
	v_add_co_ci_u32_e32 v13, vcc_lo, v29, v17, vcc_lo
	v_mov_b32_e32 v32, 0
	v_add_co_u32 v14, vcc_lo, s8, v14
	v_add_co_ci_u32_e32 v15, vcc_lo, s9, v15, vcc_lo
	s_mov_b32 s15, 0
	s_branch .LBB2_11
.LBB2_10:                               ;   in Loop: Header=BB2_11 Depth=2
	s_or_b32 exec_lo, exec_lo, s1
	v_add_co_u32 v0, vcc_lo, v0, 8
	v_add_co_ci_u32_e32 v1, vcc_lo, 0, v1, vcc_lo
	v_add_co_u32 v10, vcc_lo, v10, 64
	v_add_co_ci_u32_e32 v11, vcc_lo, 0, v11, vcc_lo
	;; [unrolled: 2-line block ×3, first 2 shown]
	v_cmp_ge_i64_e32 vcc_lo, v[0:1], v[2:3]
	v_add_co_u32 v14, s1, 0x80, v14
	s_delay_alu instid0(VALU_DEP_1) | instskip(SKIP_1) | instid1(SALU_CYCLE_1)
	v_add_co_ci_u32_e64 v15, s1, 0, v15, s1
	s_or_b32 s15, vcc_lo, s15
	s_and_not1_b32 exec_lo, exec_lo, s15
	s_cbranch_execz .LBB2_15
.LBB2_11:                               ;   Parent Loop BB2_8 Depth=1
                                        ; =>  This Inner Loop Header: Depth=2
	v_add_co_u32 v33, vcc_lo, v18, v0
	v_add_co_ci_u32_e32 v34, vcc_lo, 0, v1, vcc_lo
	v_mov_b32_e32 v16, 0
	v_mov_b32_e32 v17, 0
	s_delay_alu instid0(VALU_DEP_3)
	v_cmp_lt_i64_e32 vcc_lo, v[33:34], v[2:3]
	v_dual_mov_b32 v34, 0 :: v_dual_mov_b32 v33, 0
	s_and_saveexec_b32 s1, vcc_lo
	s_cbranch_execz .LBB2_13
; %bb.12:                               ;   in Loop: Header=BB2_11 Depth=2
	global_load_b64 v[16:17], v[10:11], off
	global_load_b32 v33, v[12:13], off
	global_load_b32 v34, v[14:15], off
	s_waitcnt vmcnt(2)
	v_sub_co_u32 v16, vcc_lo, v16, s10
	v_subrev_co_ci_u32_e32 v17, vcc_lo, 0, v17, vcc_lo
	s_delay_alu instid0(VALU_DEP_1)
	v_lshlrev_b64 v[16:17], 1, v[16:17]
.LBB2_13:                               ;   in Loop: Header=BB2_11 Depth=2
	s_or_b32 exec_lo, exec_lo, s1
	ds_store_b64 v22, v[16:17]
	s_waitcnt vmcnt(0)
	ds_store_2addr_b32 v23, v33, v34 offset1:1
	s_waitcnt lgkmcnt(0)
	s_waitcnt_vscnt null, 0x0
	s_barrier
	buffer_gl0_inv
	s_and_saveexec_b32 s1, s0
	s_cbranch_execz .LBB2_10
; %bb.14:                               ;   in Loop: Header=BB2_11 Depth=2
	ds_load_b128 v[33:36], v19
	ds_load_b128 v[37:40], v19 offset:16
	s_waitcnt lgkmcnt(1)
	v_lshlrev_b64 v[16:17], 2, v[33:34]
	v_lshlrev_b64 v[33:34], 2, v[35:36]
	s_waitcnt lgkmcnt(0)
	v_lshlrev_b64 v[37:38], 2, v[37:38]
	v_lshlrev_b64 v[39:40], 2, v[39:40]
	s_delay_alu instid0(VALU_DEP_4)
	v_add_co_u32 v16, vcc_lo, v24, v16
	v_add_co_ci_u32_e32 v17, vcc_lo, v25, v17, vcc_lo
	v_add_co_u32 v41, vcc_lo, v24, v33
	v_add_co_ci_u32_e32 v42, vcc_lo, v25, v34, vcc_lo
	global_load_b64 v[16:17], v[16:17], off
	ds_load_b128 v[33:36], v19 offset:32
	v_add_co_u32 v37, vcc_lo, v24, v37
	global_load_b64 v[41:42], v[41:42], off
	v_add_co_ci_u32_e32 v38, vcc_lo, v25, v38, vcc_lo
	v_add_co_u32 v45, vcc_lo, v24, v39
	v_add_co_ci_u32_e32 v46, vcc_lo, v25, v40, vcc_lo
	global_load_b64 v[43:44], v[37:38], off
	ds_load_b128 v[37:40], v19 offset:48
	global_load_b64 v[45:46], v[45:46], off
	s_waitcnt lgkmcnt(1)
	v_lshlrev_b64 v[33:34], 2, v[33:34]
	v_lshlrev_b64 v[35:36], 2, v[35:36]
	s_delay_alu instid0(VALU_DEP_2) | instskip(NEXT) | instid1(VALU_DEP_3)
	v_add_co_u32 v33, vcc_lo, v24, v33
	v_add_co_ci_u32_e32 v34, vcc_lo, v25, v34, vcc_lo
	global_load_b64 v[47:48], v[33:34], off
	v_add_co_u32 v33, vcc_lo, v24, v35
	v_add_co_ci_u32_e32 v34, vcc_lo, v25, v36, vcc_lo
	s_waitcnt lgkmcnt(0)
	v_lshlrev_b64 v[35:36], 2, v[37:38]
	global_load_b64 v[49:50], v[33:34], off
	v_add_co_u32 v33, vcc_lo, v24, v35
	v_add_co_ci_u32_e32 v34, vcc_lo, v25, v36, vcc_lo
	v_lshlrev_b64 v[35:36], 2, v[39:40]
	global_load_b64 v[51:52], v[33:34], off
	v_add_co_u32 v33, vcc_lo, v24, v35
	v_add_co_ci_u32_e32 v34, vcc_lo, v25, v36, vcc_lo
	global_load_b64 v[53:54], v[33:34], off
	ds_load_2addr_b64 v[33:36], v20 offset1:3
	ds_load_2addr_b32 v[37:38], v20 offset0:3 offset1:4
	s_waitcnt vmcnt(7) lgkmcnt(1)
	v_fmac_f32_e32 v32, v33, v16
	s_delay_alu instid0(VALU_DEP_1)
	v_fmac_f32_e32 v32, v34, v17
	ds_load_2addr_b32 v[16:17], v20 offset0:9 offset1:10
	ds_load_2addr_b32 v[33:34], v20 offset0:15 offset1:16
	ds_load_2addr_b32 v[55:56], v20 offset0:21 offset1:22
	s_waitcnt vmcnt(6) lgkmcnt(3)
	v_fmac_f32_e32 v32, v37, v41
	s_delay_alu instid0(VALU_DEP_1) | instskip(SKIP_3) | instid1(VALU_DEP_1)
	v_fmac_f32_e32 v32, v38, v42
	ds_load_2addr_b64 v[37:40], v20 offset0:6 offset1:9
	s_waitcnt vmcnt(5)
	v_fmac_f32_e32 v32, v35, v43
	v_fmac_f32_e32 v32, v36, v44
	s_waitcnt vmcnt(4) lgkmcnt(3)
	s_delay_alu instid0(VALU_DEP_1) | instskip(NEXT) | instid1(VALU_DEP_1)
	v_fmac_f32_e32 v32, v16, v45
	v_fmac_f32_e32 v32, v17, v46
	s_waitcnt vmcnt(3) lgkmcnt(0)
	s_delay_alu instid0(VALU_DEP_1) | instskip(NEXT) | instid1(VALU_DEP_1)
	v_fmac_f32_e32 v32, v37, v47
	v_fmac_f32_e32 v32, v38, v48
	s_waitcnt vmcnt(2)
	s_delay_alu instid0(VALU_DEP_1) | instskip(NEXT) | instid1(VALU_DEP_1)
	v_fmac_f32_e32 v32, v33, v49
	v_fmac_f32_e32 v32, v34, v50
	s_waitcnt vmcnt(1)
	;; [unrolled: 4-line block ×3, first 2 shown]
	s_delay_alu instid0(VALU_DEP_1) | instskip(NEXT) | instid1(VALU_DEP_1)
	v_fmac_f32_e32 v32, v55, v53
	v_fmac_f32_e32 v32, v56, v54
	s_branch .LBB2_10
.LBB2_15:                               ;   in Loop: Header=BB2_8 Depth=1
	s_or_b32 exec_lo, exec_lo, s15
.LBB2_16:                               ;   in Loop: Header=BB2_8 Depth=1
	s_delay_alu instid0(SALU_CYCLE_1)
	s_or_b32 exec_lo, exec_lo, s11
	s_and_saveexec_b32 s1, s0
	s_cbranch_execz .LBB2_7
; %bb.17:                               ;   in Loop: Header=BB2_8 Depth=1
	v_mul_f32_e32 v0, s2, v32
	s_and_b32 vcc_lo, exec_lo, s13
	s_cbranch_vccz .LBB2_23
; %bb.18:                               ;   in Loop: Header=BB2_8 Depth=1
	s_and_b32 vcc_lo, exec_lo, s14
	s_mov_b32 s11, -1
	s_cbranch_vccz .LBB2_20
; %bb.19:                               ;   in Loop: Header=BB2_8 Depth=1
	global_load_b32 v1, v[6:7], off
	s_mov_b32 s11, 0
	s_waitcnt vmcnt(0)
	v_fma_f32 v1, s12, v1, v0
	global_store_b32 v[6:7], v1, off
.LBB2_20:                               ;   in Loop: Header=BB2_8 Depth=1
	s_and_not1_b32 vcc_lo, exec_lo, s11
	s_cbranch_vccnz .LBB2_22
; %bb.21:                               ;   in Loop: Header=BB2_8 Depth=1
	global_load_b32 v1, v[8:9], off
	s_waitcnt vmcnt(0)
	v_fma_f32 v1, s12, v1, v0
	global_store_b32 v[8:9], v1, off
.LBB2_22:                               ;   in Loop: Header=BB2_8 Depth=1
	s_cbranch_execnz .LBB2_7
	s_branch .LBB2_24
.LBB2_23:                               ;   in Loop: Header=BB2_8 Depth=1
.LBB2_24:                               ;   in Loop: Header=BB2_8 Depth=1
	s_and_b32 vcc_lo, exec_lo, s14
	s_mov_b32 s11, -1
	s_cbranch_vccz .LBB2_26
; %bb.25:                               ;   in Loop: Header=BB2_8 Depth=1
	s_mov_b32 s11, 0
	global_store_b32 v[6:7], v0, off
.LBB2_26:                               ;   in Loop: Header=BB2_8 Depth=1
	s_and_not1_b32 vcc_lo, exec_lo, s11
	s_cbranch_vccnz .LBB2_7
; %bb.27:                               ;   in Loop: Header=BB2_8 Depth=1
	global_store_b32 v[8:9], v0, off
	s_branch .LBB2_7
.LBB2_28:
	s_nop 0
	s_sendmsg sendmsg(MSG_DEALLOC_VGPRS)
	s_endpgm
	.section	.rodata,"a",@progbits
	.p2align	6, 0x0
	.amdhsa_kernel _ZN9rocsparseL29bsrmmnn_small_blockdim_kernelILj64ELj8ELj2EllffffEEv20rocsparse_direction_T3_S2_llNS_24const_host_device_scalarIT7_EEPKT2_PKS2_PKT4_PKT5_llS5_PT6_ll16rocsparse_order_21rocsparse_index_base_b
		.amdhsa_group_segment_fixed_size 1280
		.amdhsa_private_segment_fixed_size 0
		.amdhsa_kernarg_size 400
		.amdhsa_user_sgpr_count 14
		.amdhsa_user_sgpr_dispatch_ptr 0
		.amdhsa_user_sgpr_queue_ptr 0
		.amdhsa_user_sgpr_kernarg_segment_ptr 1
		.amdhsa_user_sgpr_dispatch_id 0
		.amdhsa_user_sgpr_private_segment_size 0
		.amdhsa_wavefront_size32 1
		.amdhsa_uses_dynamic_stack 0
		.amdhsa_enable_private_segment 0
		.amdhsa_system_sgpr_workgroup_id_x 1
		.amdhsa_system_sgpr_workgroup_id_y 1
		.amdhsa_system_sgpr_workgroup_id_z 0
		.amdhsa_system_sgpr_workgroup_info 0
		.amdhsa_system_vgpr_workitem_id 0
		.amdhsa_next_free_vgpr 57
		.amdhsa_next_free_sgpr 28
		.amdhsa_reserve_vcc 1
		.amdhsa_float_round_mode_32 0
		.amdhsa_float_round_mode_16_64 0
		.amdhsa_float_denorm_mode_32 3
		.amdhsa_float_denorm_mode_16_64 3
		.amdhsa_dx10_clamp 1
		.amdhsa_ieee_mode 1
		.amdhsa_fp16_overflow 0
		.amdhsa_workgroup_processor_mode 1
		.amdhsa_memory_ordered 1
		.amdhsa_forward_progress 0
		.amdhsa_shared_vgpr_count 0
		.amdhsa_exception_fp_ieee_invalid_op 0
		.amdhsa_exception_fp_denorm_src 0
		.amdhsa_exception_fp_ieee_div_zero 0
		.amdhsa_exception_fp_ieee_overflow 0
		.amdhsa_exception_fp_ieee_underflow 0
		.amdhsa_exception_fp_ieee_inexact 0
		.amdhsa_exception_int_div_zero 0
	.end_amdhsa_kernel
	.section	.text._ZN9rocsparseL29bsrmmnn_small_blockdim_kernelILj64ELj8ELj2EllffffEEv20rocsparse_direction_T3_S2_llNS_24const_host_device_scalarIT7_EEPKT2_PKS2_PKT4_PKT5_llS5_PT6_ll16rocsparse_order_21rocsparse_index_base_b,"axG",@progbits,_ZN9rocsparseL29bsrmmnn_small_blockdim_kernelILj64ELj8ELj2EllffffEEv20rocsparse_direction_T3_S2_llNS_24const_host_device_scalarIT7_EEPKT2_PKS2_PKT4_PKT5_llS5_PT6_ll16rocsparse_order_21rocsparse_index_base_b,comdat
.Lfunc_end2:
	.size	_ZN9rocsparseL29bsrmmnn_small_blockdim_kernelILj64ELj8ELj2EllffffEEv20rocsparse_direction_T3_S2_llNS_24const_host_device_scalarIT7_EEPKT2_PKS2_PKT4_PKT5_llS5_PT6_ll16rocsparse_order_21rocsparse_index_base_b, .Lfunc_end2-_ZN9rocsparseL29bsrmmnn_small_blockdim_kernelILj64ELj8ELj2EllffffEEv20rocsparse_direction_T3_S2_llNS_24const_host_device_scalarIT7_EEPKT2_PKS2_PKT4_PKT5_llS5_PT6_ll16rocsparse_order_21rocsparse_index_base_b
                                        ; -- End function
	.section	.AMDGPU.csdata,"",@progbits
; Kernel info:
; codeLenInByte = 1776
; NumSgprs: 30
; NumVgprs: 57
; ScratchSize: 0
; MemoryBound: 0
; FloatMode: 240
; IeeeMode: 1
; LDSByteSize: 1280 bytes/workgroup (compile time only)
; SGPRBlocks: 3
; VGPRBlocks: 7
; NumSGPRsForWavesPerEU: 30
; NumVGPRsForWavesPerEU: 57
; Occupancy: 16
; WaveLimiterHint : 1
; COMPUTE_PGM_RSRC2:SCRATCH_EN: 0
; COMPUTE_PGM_RSRC2:USER_SGPR: 14
; COMPUTE_PGM_RSRC2:TRAP_HANDLER: 0
; COMPUTE_PGM_RSRC2:TGID_X_EN: 1
; COMPUTE_PGM_RSRC2:TGID_Y_EN: 1
; COMPUTE_PGM_RSRC2:TGID_Z_EN: 0
; COMPUTE_PGM_RSRC2:TIDIG_COMP_CNT: 0
	.section	.text._ZN9rocsparseL29bsrmmnn_small_blockdim_kernelILj64ELj8ELj2EiiddddEEv20rocsparse_direction_T3_S2_llNS_24const_host_device_scalarIT7_EEPKT2_PKS2_PKT4_PKT5_llS5_PT6_ll16rocsparse_order_21rocsparse_index_base_b,"axG",@progbits,_ZN9rocsparseL29bsrmmnn_small_blockdim_kernelILj64ELj8ELj2EiiddddEEv20rocsparse_direction_T3_S2_llNS_24const_host_device_scalarIT7_EEPKT2_PKS2_PKT4_PKT5_llS5_PT6_ll16rocsparse_order_21rocsparse_index_base_b,comdat
	.globl	_ZN9rocsparseL29bsrmmnn_small_blockdim_kernelILj64ELj8ELj2EiiddddEEv20rocsparse_direction_T3_S2_llNS_24const_host_device_scalarIT7_EEPKT2_PKS2_PKT4_PKT5_llS5_PT6_ll16rocsparse_order_21rocsparse_index_base_b ; -- Begin function _ZN9rocsparseL29bsrmmnn_small_blockdim_kernelILj64ELj8ELj2EiiddddEEv20rocsparse_direction_T3_S2_llNS_24const_host_device_scalarIT7_EEPKT2_PKS2_PKT4_PKT5_llS5_PT6_ll16rocsparse_order_21rocsparse_index_base_b
	.p2align	8
	.type	_ZN9rocsparseL29bsrmmnn_small_blockdim_kernelILj64ELj8ELj2EiiddddEEv20rocsparse_direction_T3_S2_llNS_24const_host_device_scalarIT7_EEPKT2_PKS2_PKT4_PKT5_llS5_PT6_ll16rocsparse_order_21rocsparse_index_base_b,@function
_ZN9rocsparseL29bsrmmnn_small_blockdim_kernelILj64ELj8ELj2EiiddddEEv20rocsparse_direction_T3_S2_llNS_24const_host_device_scalarIT7_EEPKT2_PKS2_PKT4_PKT5_llS5_PT6_ll16rocsparse_order_21rocsparse_index_base_b: ; @_ZN9rocsparseL29bsrmmnn_small_blockdim_kernelILj64ELj8ELj2EiiddddEEv20rocsparse_direction_T3_S2_llNS_24const_host_device_scalarIT7_EEPKT2_PKS2_PKT4_PKT5_llS5_PT6_ll16rocsparse_order_21rocsparse_index_base_b
; %bb.0:
	s_clause 0x2
	s_load_b128 s[16:19], s[0:1], 0x78
	s_load_b64 s[4:5], s[0:1], 0x20
	s_load_b64 s[2:3], s[0:1], 0x58
	s_waitcnt lgkmcnt(0)
	s_bitcmp1_b32 s18, 0
	v_dual_mov_b32 v1, s4 :: v_dual_mov_b32 v2, s5
	s_cselect_b32 s6, -1, 0
	s_delay_alu instid0(SALU_CYCLE_1)
	s_and_b32 vcc_lo, exec_lo, s6
	s_xor_b32 s6, s6, -1
	s_cbranch_vccnz .LBB3_2
; %bb.1:
	v_dual_mov_b32 v1, s4 :: v_dual_mov_b32 v2, s5
	flat_load_b64 v[1:2], v[1:2]
.LBB3_2:
	v_dual_mov_b32 v4, s3 :: v_dual_mov_b32 v3, s2
	s_and_not1_b32 vcc_lo, exec_lo, s6
	s_cbranch_vccnz .LBB3_4
; %bb.3:
	v_dual_mov_b32 v4, s3 :: v_dual_mov_b32 v3, s2
	flat_load_b64 v[3:4], v[3:4]
.LBB3_4:
	s_waitcnt vmcnt(0) lgkmcnt(0)
	v_cmp_neq_f64_e32 vcc_lo, 0, v[1:2]
	v_cmp_neq_f64_e64 s2, 1.0, v[3:4]
	s_delay_alu instid0(VALU_DEP_1) | instskip(NEXT) | instid1(SALU_CYCLE_1)
	s_or_b32 s2, vcc_lo, s2
	s_and_saveexec_b32 s3, s2
	s_cbranch_execz .LBB3_27
; %bb.5:
	s_clause 0x1
	s_load_b32 s3, s[0:1], 0x88
	s_load_b128 s[20:23], s[0:1], 0x0
	s_add_u32 s2, s0, 0x88
	s_addc_u32 s5, s1, 0
	v_mov_b32_e32 v6, 0
	s_waitcnt lgkmcnt(0)
	s_cmp_lt_u32 s14, s3
	s_cselect_b32 s4, 12, 18
	s_delay_alu instid0(SALU_CYCLE_1)
	s_add_u32 s4, s2, s4
	s_addc_u32 s5, s5, 0
	s_mov_b32 s2, 0
	global_load_u16 v5, v6, s[4:5]
	s_waitcnt vmcnt(0)
	v_mad_u64_u32 v[8:9], null, s14, v5, v[0:1]
	s_delay_alu instid0(VALU_DEP_1) | instskip(NEXT) | instid1(VALU_DEP_1)
	v_lshrrev_b32_e32 v7, 4, v8
	v_cmp_gt_i32_e32 vcc_lo, s21, v7
	s_and_b32 exec_lo, exec_lo, vcc_lo
	s_cbranch_execz .LBB3_27
; %bb.6:
	s_clause 0x2
	s_load_b128 s[24:27], s[0:1], 0x60
	s_load_b64 s[12:13], s[0:1], 0x48
	s_load_b256 s[4:11], s[0:1], 0x28
	v_lshrrev_b32_e32 v19, 3, v8
	v_mul_lo_u32 v5, s3, v5
	v_bfe_u32 v20, v8, 3, 1
	v_cmp_neq_f64_e64 s0, 0, v[3:4]
	s_cmp_lg_u32 s16, 1
	v_lshrrev_b32_e32 v21, 3, v0
	s_cselect_b32 s3, -1, 0
	s_cmp_eq_u32 s20, 0
	s_delay_alu instid0(VALU_DEP_4) | instskip(NEXT) | instid1(VALU_DEP_2)
	v_lshrrev_b32_e32 v25, 4, v5
	v_lshl_or_b32 v0, v21, 5, 0x600
	v_mul_u32_u24_e32 v24, 0xc0, v21
	s_waitcnt lgkmcnt(0)
	v_mad_u64_u32 v[11:12], null, v19, s26, 0
	s_delay_alu instid0(VALU_DEP_1) | instskip(NEXT) | instid1(VALU_DEP_1)
	v_mov_b32_e32 v5, v12
	v_mad_u64_u32 v[17:18], null, v19, s27, v[5:6]
	v_and_b32_e32 v23, 7, v8
	s_delay_alu instid0(VALU_DEP_1) | instskip(NEXT) | instid1(VALU_DEP_1)
	v_lshl_or_b32 v9, s15, 3, v23
	v_ashrrev_i32_e32 v10, 31, v9
	v_mul_lo_u32 v12, v9, s27
	v_mad_u64_u32 v[15:16], null, v9, s26, 0
	v_mul_lo_u32 v28, v9, s13
	s_delay_alu instid0(VALU_DEP_4) | instskip(SKIP_2) | instid1(VALU_DEP_3)
	v_mul_lo_u32 v29, v10, s26
	v_mul_lo_u32 v27, v10, s12
	v_cmp_gt_i32_e64 s1, s22, v9
	v_add3_u32 v16, v16, v12, v29
	v_mov_b32_e32 v12, v17
	v_mul_u32_u24_e32 v13, 3, v23
	v_lshl_or_b32 v26, v23, 2, v0
	v_subrev_nc_u32_e32 v31, s17, v23
	v_lshlrev_b64 v[15:16], 3, v[15:16]
	s_delay_alu instid0(VALU_DEP_4) | instskip(SKIP_2) | instid1(VALU_DEP_2)
	v_lshlrev_b32_e32 v22, 3, v13
	v_mad_u64_u32 v[13:14], null, v9, s12, 0
	v_lshlrev_b64 v[9:10], 3, v[9:10]
	v_add3_u32 v14, v14, v28, v27
	s_delay_alu instid0(VALU_DEP_2) | instskip(NEXT) | instid1(VALU_DEP_3)
	v_add_co_u32 v5, vcc_lo, s24, v9
	v_add_co_ci_u32_e32 v17, vcc_lo, s25, v10, vcc_lo
	s_delay_alu instid0(VALU_DEP_3) | instskip(SKIP_2) | instid1(VALU_DEP_3)
	v_lshlrev_b64 v[13:14], 3, v[13:14]
	v_lshlrev_b64 v[9:10], 3, v[11:12]
	v_mad_u32_u24 v27, 0xc0, v21, v22
	v_add_co_u32 v28, vcc_lo, s10, v13
	s_delay_alu instid0(VALU_DEP_4) | instskip(NEXT) | instid1(VALU_DEP_4)
	v_add_co_ci_u32_e32 v29, vcc_lo, s11, v14, vcc_lo
	v_add_co_u32 v9, vcc_lo, v5, v9
	v_add_co_ci_u32_e32 v10, vcc_lo, v17, v10, vcc_lo
	v_and_b32_e32 v5, -8, v8
	v_add_co_u32 v8, vcc_lo, s24, v15
	s_cselect_b32 s10, -1, 0
	v_add_co_ci_u32_e32 v12, vcc_lo, s25, v16, vcc_lo
	v_cndmask_b32_e64 v13, 0, 1, s10
	s_delay_alu instid0(VALU_DEP_3) | instskip(NEXT) | instid1(VALU_DEP_3)
	v_add_co_u32 v11, vcc_lo, v8, v5
	v_add_co_ci_u32_e32 v12, vcc_lo, 0, v12, vcc_lo
	s_delay_alu instid0(VALU_DEP_3)
	v_lshlrev_b32_e32 v30, v13, v20
	s_and_b32 s10, s10, exec_lo
	s_cselect_b32 s10, 1, 2
	s_branch .LBB3_8
.LBB3_7:                                ;   in Loop: Header=BB3_8 Depth=1
	s_or_b32 exec_lo, exec_lo, s11
	v_add_nc_u32_e32 v7, v7, v25
	s_delay_alu instid0(VALU_DEP_1) | instskip(SKIP_1) | instid1(SALU_CYCLE_1)
	v_cmp_le_i32_e32 vcc_lo, s21, v7
	s_or_b32 s2, vcc_lo, s2
	s_and_not1_b32 exec_lo, exec_lo, s2
	s_cbranch_execz .LBB3_27
.LBB3_8:                                ; =>This Loop Header: Depth=1
                                        ;     Child Loop BB3_11 Depth 2
	v_dual_mov_b32 v8, v6 :: v_dual_mov_b32 v15, 0
	v_mov_b32_e32 v16, 0
	s_mov_b32 s11, exec_lo
	s_delay_alu instid0(VALU_DEP_2) | instskip(NEXT) | instid1(VALU_DEP_1)
	v_lshlrev_b64 v[13:14], 2, v[7:8]
	v_add_co_u32 v13, vcc_lo, s4, v13
	s_delay_alu instid0(VALU_DEP_2)
	v_add_co_ci_u32_e32 v14, vcc_lo, s5, v14, vcc_lo
	global_load_b64 v[17:18], v[13:14], off
	s_waitcnt vmcnt(0)
	v_cmpx_lt_i32_e64 v17, v18
	s_cbranch_execz .LBB3_16
; %bb.9:                                ;   in Loop: Header=BB3_8 Depth=1
	v_mov_b32_e32 v13, 0
	v_dual_mov_b32 v14, 0 :: v_dual_add_nc_u32 v5, v31, v17
	v_subrev_nc_u32_e32 v8, s17, v18
	v_subrev_nc_u32_e32 v32, s17, v17
	s_mov_b32 s12, 0
	s_delay_alu instid0(VALU_DEP_3)
	v_lshl_or_b32 v5, v5, 2, v30
	v_dual_mov_b32 v16, v14 :: v_dual_mov_b32 v15, v13
	s_branch .LBB3_11
.LBB3_10:                               ;   in Loop: Header=BB3_11 Depth=2
	s_or_b32 exec_lo, exec_lo, s13
	v_add_nc_u32_e32 v32, 8, v32
	v_add_nc_u32_e32 v5, 32, v5
	s_delay_alu instid0(VALU_DEP_2) | instskip(SKIP_1) | instid1(SALU_CYCLE_1)
	v_cmp_ge_i32_e32 vcc_lo, v32, v8
	s_or_b32 s12, vcc_lo, s12
	s_and_not1_b32 exec_lo, exec_lo, s12
	s_cbranch_execz .LBB3_15
.LBB3_11:                               ;   Parent Loop BB3_8 Depth=1
                                        ; =>  This Inner Loop Header: Depth=2
	v_dual_mov_b32 v22, 0 :: v_dual_add_nc_u32 v21, v23, v32
	v_dual_mov_b32 v18, v14 :: v_dual_mov_b32 v17, v13
	v_dual_mov_b32 v20, v14 :: v_dual_mov_b32 v19, v13
	s_mov_b32 s13, exec_lo
	s_delay_alu instid0(VALU_DEP_3)
	v_cmpx_lt_i32_e64 v21, v8
	s_cbranch_execz .LBB3_13
; %bb.12:                               ;   in Loop: Header=BB3_11 Depth=2
	v_ashrrev_i32_e32 v22, 31, v21
	v_dual_mov_b32 v20, v6 :: v_dual_add_nc_u32 v19, s10, v5
	s_delay_alu instid0(VALU_DEP_2) | instskip(SKIP_1) | instid1(VALU_DEP_3)
	v_lshlrev_b64 v[17:18], 2, v[21:22]
	v_lshlrev_b64 v[21:22], 3, v[5:6]
	;; [unrolled: 1-line block ×3, first 2 shown]
	s_delay_alu instid0(VALU_DEP_3) | instskip(NEXT) | instid1(VALU_DEP_4)
	v_add_co_u32 v17, vcc_lo, s6, v17
	v_add_co_ci_u32_e32 v18, vcc_lo, s7, v18, vcc_lo
	global_load_b32 v33, v[17:18], off
	v_add_co_u32 v17, vcc_lo, s8, v21
	v_add_co_ci_u32_e32 v18, vcc_lo, s9, v22, vcc_lo
	v_add_co_u32 v19, vcc_lo, s8, v19
	v_add_co_ci_u32_e32 v20, vcc_lo, s9, v20, vcc_lo
	s_clause 0x1
	global_load_b64 v[17:18], v[17:18], off
	global_load_b64 v[19:20], v[19:20], off
	s_waitcnt vmcnt(2)
	v_subrev_nc_u32_e32 v21, s17, v33
	s_delay_alu instid0(VALU_DEP_1)
	v_lshlrev_b32_e32 v22, 1, v21
.LBB3_13:                               ;   in Loop: Header=BB3_11 Depth=2
	s_or_b32 exec_lo, exec_lo, s13
	ds_store_b32 v26, v22
	s_waitcnt vmcnt(0)
	ds_store_2addr_b64 v27, v[17:18], v[19:20] offset1:1
	s_waitcnt lgkmcnt(0)
	s_waitcnt_vscnt null, 0x0
	s_barrier
	buffer_gl0_inv
	s_and_saveexec_b32 s13, s1
	s_cbranch_execz .LBB3_10
; %bb.14:                               ;   in Loop: Header=BB3_11 Depth=2
	ds_load_b128 v[17:20], v0
	ds_load_b128 v[33:36], v0 offset:16
	ds_load_b128 v[49:52], v24
	ds_load_2addr_b64 v[57:60], v24 offset0:3 offset1:4
	s_waitcnt lgkmcnt(3)
	v_ashrrev_i32_e32 v22, 31, v17
	v_mov_b32_e32 v21, v17
	s_delay_alu instid0(VALU_DEP_1) | instskip(NEXT) | instid1(VALU_DEP_1)
	v_lshlrev_b64 v[21:22], 3, v[21:22]
	v_add_co_u32 v21, vcc_lo, v28, v21
	s_delay_alu instid0(VALU_DEP_2) | instskip(SKIP_3) | instid1(VALU_DEP_1)
	v_add_co_ci_u32_e32 v22, vcc_lo, v29, v22, vcc_lo
	global_load_b128 v[37:40], v[21:22], off
	v_ashrrev_i32_e32 v22, 31, v18
	v_mov_b32_e32 v21, v18
	v_lshlrev_b64 v[17:18], 3, v[21:22]
	s_waitcnt lgkmcnt(2)
	v_ashrrev_i32_e32 v22, 31, v33
	v_mov_b32_e32 v21, v33
	s_delay_alu instid0(VALU_DEP_3) | instskip(NEXT) | instid1(VALU_DEP_4)
	v_add_co_u32 v17, vcc_lo, v28, v17
	v_add_co_ci_u32_e32 v18, vcc_lo, v29, v18, vcc_lo
	s_delay_alu instid0(VALU_DEP_3) | instskip(SKIP_3) | instid1(VALU_DEP_1)
	v_lshlrev_b64 v[21:22], 3, v[21:22]
	global_load_b128 v[41:44], v[17:18], off
	v_ashrrev_i32_e32 v18, 31, v19
	v_mov_b32_e32 v17, v19
	v_lshlrev_b64 v[17:18], 3, v[17:18]
	s_delay_alu instid0(VALU_DEP_1) | instskip(NEXT) | instid1(VALU_DEP_2)
	v_add_co_u32 v17, vcc_lo, v28, v17
	v_add_co_ci_u32_e32 v18, vcc_lo, v29, v18, vcc_lo
	global_load_b128 v[45:48], v[17:18], off
	v_ashrrev_i32_e32 v18, 31, v20
	v_mov_b32_e32 v17, v20
	s_delay_alu instid0(VALU_DEP_1) | instskip(NEXT) | instid1(VALU_DEP_1)
	v_lshlrev_b64 v[17:18], 3, v[17:18]
	v_add_co_u32 v17, vcc_lo, v28, v17
	s_delay_alu instid0(VALU_DEP_2)
	v_add_co_ci_u32_e32 v18, vcc_lo, v29, v18, vcc_lo
	v_add_co_u32 v21, vcc_lo, v28, v21
	v_add_co_ci_u32_e32 v22, vcc_lo, v29, v22, vcc_lo
	s_clause 0x1
	global_load_b128 v[17:20], v[17:18], off
	global_load_b128 v[53:56], v[21:22], off
	v_ashrrev_i32_e32 v22, 31, v34
	v_mov_b32_e32 v21, v34
	s_delay_alu instid0(VALU_DEP_1) | instskip(NEXT) | instid1(VALU_DEP_1)
	v_lshlrev_b64 v[21:22], 3, v[21:22]
	v_add_co_u32 v21, vcc_lo, v28, v21
	s_delay_alu instid0(VALU_DEP_2) | instskip(SKIP_2) | instid1(VALU_DEP_1)
	v_add_co_ci_u32_e32 v22, vcc_lo, v29, v22, vcc_lo
	s_waitcnt vmcnt(4) lgkmcnt(1)
	v_fma_f64 v[15:16], v[49:50], v[37:38], v[15:16]
	v_fma_f64 v[15:16], v[51:52], v[39:40], v[15:16]
	global_load_b128 v[37:40], v[21:22], off
	v_ashrrev_i32_e32 v22, 31, v35
	v_mov_b32_e32 v21, v35
	s_delay_alu instid0(VALU_DEP_1) | instskip(NEXT) | instid1(VALU_DEP_1)
	v_lshlrev_b64 v[21:22], 3, v[21:22]
	v_add_co_u32 v21, vcc_lo, v28, v21
	s_delay_alu instid0(VALU_DEP_2) | instskip(SKIP_3) | instid1(VALU_DEP_1)
	v_add_co_ci_u32_e32 v22, vcc_lo, v29, v22, vcc_lo
	global_load_b128 v[49:52], v[21:22], off
	v_ashrrev_i32_e32 v22, 31, v36
	v_mov_b32_e32 v21, v36
	v_lshlrev_b64 v[21:22], 3, v[21:22]
	s_delay_alu instid0(VALU_DEP_1) | instskip(NEXT) | instid1(VALU_DEP_2)
	v_add_co_u32 v21, vcc_lo, v28, v21
	v_add_co_ci_u32_e32 v22, vcc_lo, v29, v22, vcc_lo
	s_waitcnt vmcnt(5) lgkmcnt(0)
	v_fma_f64 v[15:16], v[57:58], v[41:42], v[15:16]
	global_load_b128 v[33:36], v[21:22], off
	v_fma_f64 v[15:16], v[59:60], v[43:44], v[15:16]
	ds_load_b128 v[41:44], v24 offset:48
	ds_load_2addr_b64 v[57:60], v24 offset0:9 offset1:10
	s_waitcnt vmcnt(5) lgkmcnt(1)
	v_fma_f64 v[15:16], v[41:42], v[45:46], v[15:16]
	s_delay_alu instid0(VALU_DEP_1) | instskip(SKIP_1) | instid1(VALU_DEP_1)
	v_fma_f64 v[15:16], v[43:44], v[47:48], v[15:16]
	s_waitcnt vmcnt(4) lgkmcnt(0)
	v_fma_f64 v[15:16], v[57:58], v[17:18], v[15:16]
	s_delay_alu instid0(VALU_DEP_1) | instskip(SKIP_4) | instid1(VALU_DEP_1)
	v_fma_f64 v[41:42], v[59:60], v[19:20], v[15:16]
	ds_load_b128 v[15:18], v24 offset:96
	ds_load_2addr_b64 v[19:22], v24 offset0:15 offset1:16
	s_waitcnt vmcnt(3) lgkmcnt(1)
	v_fma_f64 v[15:16], v[15:16], v[53:54], v[41:42]
	v_fma_f64 v[15:16], v[17:18], v[55:56], v[15:16]
	s_waitcnt vmcnt(2) lgkmcnt(0)
	s_delay_alu instid0(VALU_DEP_1) | instskip(NEXT) | instid1(VALU_DEP_1)
	v_fma_f64 v[15:16], v[19:20], v[37:38], v[15:16]
	v_fma_f64 v[37:38], v[21:22], v[39:40], v[15:16]
	ds_load_b128 v[15:18], v24 offset:144
	ds_load_2addr_b64 v[19:22], v24 offset0:21 offset1:22
	s_waitcnt vmcnt(1) lgkmcnt(1)
	v_fma_f64 v[15:16], v[15:16], v[49:50], v[37:38]
	s_delay_alu instid0(VALU_DEP_1) | instskip(SKIP_1) | instid1(VALU_DEP_1)
	v_fma_f64 v[15:16], v[17:18], v[51:52], v[15:16]
	s_waitcnt vmcnt(0) lgkmcnt(0)
	v_fma_f64 v[15:16], v[19:20], v[33:34], v[15:16]
	s_delay_alu instid0(VALU_DEP_1)
	v_fma_f64 v[15:16], v[21:22], v[35:36], v[15:16]
	s_branch .LBB3_10
.LBB3_15:                               ;   in Loop: Header=BB3_8 Depth=1
	s_or_b32 exec_lo, exec_lo, s12
.LBB3_16:                               ;   in Loop: Header=BB3_8 Depth=1
	s_delay_alu instid0(SALU_CYCLE_1)
	s_or_b32 exec_lo, exec_lo, s11
	s_and_saveexec_b32 s11, s1
	s_cbranch_execz .LBB3_7
; %bb.17:                               ;   in Loop: Header=BB3_8 Depth=1
	s_delay_alu instid0(VALU_DEP_4) | instskip(SKIP_1) | instid1(SALU_CYCLE_1)
	v_mul_f64 v[13:14], v[1:2], v[15:16]
	s_and_saveexec_b32 s12, s0
	s_xor_b32 s12, exec_lo, s12
	s_cbranch_execz .LBB3_22
; %bb.18:                               ;   in Loop: Header=BB3_8 Depth=1
	s_and_b32 vcc_lo, exec_lo, s3
	s_mov_b32 s13, -1
	s_cbranch_vccz .LBB3_20
; %bb.19:                               ;   in Loop: Header=BB3_8 Depth=1
	global_load_b64 v[15:16], v[9:10], off
	s_mov_b32 s13, 0
	s_waitcnt vmcnt(0)
	v_fma_f64 v[15:16], v[3:4], v[15:16], v[13:14]
	global_store_b64 v[9:10], v[15:16], off
.LBB3_20:                               ;   in Loop: Header=BB3_8 Depth=1
	s_and_not1_b32 vcc_lo, exec_lo, s13
	s_cbranch_vccnz .LBB3_22
; %bb.21:                               ;   in Loop: Header=BB3_8 Depth=1
	global_load_b64 v[15:16], v[11:12], off
	s_waitcnt vmcnt(0)
	v_fma_f64 v[13:14], v[3:4], v[15:16], v[13:14]
	global_store_b64 v[11:12], v[13:14], off
                                        ; implicit-def: $vgpr13_vgpr14
.LBB3_22:                               ;   in Loop: Header=BB3_8 Depth=1
	s_and_not1_saveexec_b32 s12, s12
	s_cbranch_execz .LBB3_7
; %bb.23:                               ;   in Loop: Header=BB3_8 Depth=1
	s_and_b32 vcc_lo, exec_lo, s3
	s_mov_b32 s12, -1
	s_cbranch_vccz .LBB3_25
; %bb.24:                               ;   in Loop: Header=BB3_8 Depth=1
	s_mov_b32 s12, 0
	global_store_b64 v[9:10], v[13:14], off
.LBB3_25:                               ;   in Loop: Header=BB3_8 Depth=1
	s_and_not1_b32 vcc_lo, exec_lo, s12
	s_cbranch_vccnz .LBB3_7
; %bb.26:                               ;   in Loop: Header=BB3_8 Depth=1
	global_store_b64 v[11:12], v[13:14], off
	s_branch .LBB3_7
.LBB3_27:
	s_nop 0
	s_sendmsg sendmsg(MSG_DEALLOC_VGPRS)
	s_endpgm
	.section	.rodata,"a",@progbits
	.p2align	6, 0x0
	.amdhsa_kernel _ZN9rocsparseL29bsrmmnn_small_blockdim_kernelILj64ELj8ELj2EiiddddEEv20rocsparse_direction_T3_S2_llNS_24const_host_device_scalarIT7_EEPKT2_PKS2_PKT4_PKT5_llS5_PT6_ll16rocsparse_order_21rocsparse_index_base_b
		.amdhsa_group_segment_fixed_size 1792
		.amdhsa_private_segment_fixed_size 0
		.amdhsa_kernarg_size 392
		.amdhsa_user_sgpr_count 14
		.amdhsa_user_sgpr_dispatch_ptr 0
		.amdhsa_user_sgpr_queue_ptr 0
		.amdhsa_user_sgpr_kernarg_segment_ptr 1
		.amdhsa_user_sgpr_dispatch_id 0
		.amdhsa_user_sgpr_private_segment_size 0
		.amdhsa_wavefront_size32 1
		.amdhsa_uses_dynamic_stack 0
		.amdhsa_enable_private_segment 0
		.amdhsa_system_sgpr_workgroup_id_x 1
		.amdhsa_system_sgpr_workgroup_id_y 1
		.amdhsa_system_sgpr_workgroup_id_z 0
		.amdhsa_system_sgpr_workgroup_info 0
		.amdhsa_system_vgpr_workitem_id 0
		.amdhsa_next_free_vgpr 61
		.amdhsa_next_free_sgpr 28
		.amdhsa_reserve_vcc 1
		.amdhsa_float_round_mode_32 0
		.amdhsa_float_round_mode_16_64 0
		.amdhsa_float_denorm_mode_32 3
		.amdhsa_float_denorm_mode_16_64 3
		.amdhsa_dx10_clamp 1
		.amdhsa_ieee_mode 1
		.amdhsa_fp16_overflow 0
		.amdhsa_workgroup_processor_mode 1
		.amdhsa_memory_ordered 1
		.amdhsa_forward_progress 0
		.amdhsa_shared_vgpr_count 0
		.amdhsa_exception_fp_ieee_invalid_op 0
		.amdhsa_exception_fp_denorm_src 0
		.amdhsa_exception_fp_ieee_div_zero 0
		.amdhsa_exception_fp_ieee_overflow 0
		.amdhsa_exception_fp_ieee_underflow 0
		.amdhsa_exception_fp_ieee_inexact 0
		.amdhsa_exception_int_div_zero 0
	.end_amdhsa_kernel
	.section	.text._ZN9rocsparseL29bsrmmnn_small_blockdim_kernelILj64ELj8ELj2EiiddddEEv20rocsparse_direction_T3_S2_llNS_24const_host_device_scalarIT7_EEPKT2_PKS2_PKT4_PKT5_llS5_PT6_ll16rocsparse_order_21rocsparse_index_base_b,"axG",@progbits,_ZN9rocsparseL29bsrmmnn_small_blockdim_kernelILj64ELj8ELj2EiiddddEEv20rocsparse_direction_T3_S2_llNS_24const_host_device_scalarIT7_EEPKT2_PKS2_PKT4_PKT5_llS5_PT6_ll16rocsparse_order_21rocsparse_index_base_b,comdat
.Lfunc_end3:
	.size	_ZN9rocsparseL29bsrmmnn_small_blockdim_kernelILj64ELj8ELj2EiiddddEEv20rocsparse_direction_T3_S2_llNS_24const_host_device_scalarIT7_EEPKT2_PKS2_PKT4_PKT5_llS5_PT6_ll16rocsparse_order_21rocsparse_index_base_b, .Lfunc_end3-_ZN9rocsparseL29bsrmmnn_small_blockdim_kernelILj64ELj8ELj2EiiddddEEv20rocsparse_direction_T3_S2_llNS_24const_host_device_scalarIT7_EEPKT2_PKS2_PKT4_PKT5_llS5_PT6_ll16rocsparse_order_21rocsparse_index_base_b
                                        ; -- End function
	.section	.AMDGPU.csdata,"",@progbits
; Kernel info:
; codeLenInByte = 1852
; NumSgprs: 30
; NumVgprs: 61
; ScratchSize: 0
; MemoryBound: 0
; FloatMode: 240
; IeeeMode: 1
; LDSByteSize: 1792 bytes/workgroup (compile time only)
; SGPRBlocks: 3
; VGPRBlocks: 7
; NumSGPRsForWavesPerEU: 30
; NumVGPRsForWavesPerEU: 61
; Occupancy: 16
; WaveLimiterHint : 1
; COMPUTE_PGM_RSRC2:SCRATCH_EN: 0
; COMPUTE_PGM_RSRC2:USER_SGPR: 14
; COMPUTE_PGM_RSRC2:TRAP_HANDLER: 0
; COMPUTE_PGM_RSRC2:TGID_X_EN: 1
; COMPUTE_PGM_RSRC2:TGID_Y_EN: 1
; COMPUTE_PGM_RSRC2:TGID_Z_EN: 0
; COMPUTE_PGM_RSRC2:TIDIG_COMP_CNT: 0
	.section	.text._ZN9rocsparseL29bsrmmnn_small_blockdim_kernelILj64ELj8ELj2EliddddEEv20rocsparse_direction_T3_S2_llNS_24const_host_device_scalarIT7_EEPKT2_PKS2_PKT4_PKT5_llS5_PT6_ll16rocsparse_order_21rocsparse_index_base_b,"axG",@progbits,_ZN9rocsparseL29bsrmmnn_small_blockdim_kernelILj64ELj8ELj2EliddddEEv20rocsparse_direction_T3_S2_llNS_24const_host_device_scalarIT7_EEPKT2_PKS2_PKT4_PKT5_llS5_PT6_ll16rocsparse_order_21rocsparse_index_base_b,comdat
	.globl	_ZN9rocsparseL29bsrmmnn_small_blockdim_kernelILj64ELj8ELj2EliddddEEv20rocsparse_direction_T3_S2_llNS_24const_host_device_scalarIT7_EEPKT2_PKS2_PKT4_PKT5_llS5_PT6_ll16rocsparse_order_21rocsparse_index_base_b ; -- Begin function _ZN9rocsparseL29bsrmmnn_small_blockdim_kernelILj64ELj8ELj2EliddddEEv20rocsparse_direction_T3_S2_llNS_24const_host_device_scalarIT7_EEPKT2_PKS2_PKT4_PKT5_llS5_PT6_ll16rocsparse_order_21rocsparse_index_base_b
	.p2align	8
	.type	_ZN9rocsparseL29bsrmmnn_small_blockdim_kernelILj64ELj8ELj2EliddddEEv20rocsparse_direction_T3_S2_llNS_24const_host_device_scalarIT7_EEPKT2_PKS2_PKT4_PKT5_llS5_PT6_ll16rocsparse_order_21rocsparse_index_base_b,@function
_ZN9rocsparseL29bsrmmnn_small_blockdim_kernelILj64ELj8ELj2EliddddEEv20rocsparse_direction_T3_S2_llNS_24const_host_device_scalarIT7_EEPKT2_PKS2_PKT4_PKT5_llS5_PT6_ll16rocsparse_order_21rocsparse_index_base_b: ; @_ZN9rocsparseL29bsrmmnn_small_blockdim_kernelILj64ELj8ELj2EliddddEEv20rocsparse_direction_T3_S2_llNS_24const_host_device_scalarIT7_EEPKT2_PKS2_PKT4_PKT5_llS5_PT6_ll16rocsparse_order_21rocsparse_index_base_b
; %bb.0:
	s_clause 0x2
	s_load_b128 s[16:19], s[0:1], 0x78
	s_load_b64 s[4:5], s[0:1], 0x20
	s_load_b64 s[2:3], s[0:1], 0x58
	s_waitcnt lgkmcnt(0)
	s_bitcmp1_b32 s18, 0
	v_dual_mov_b32 v4, s4 :: v_dual_mov_b32 v5, s5
	s_cselect_b32 s6, -1, 0
	s_delay_alu instid0(SALU_CYCLE_1)
	s_and_b32 vcc_lo, exec_lo, s6
	s_xor_b32 s6, s6, -1
	s_cbranch_vccnz .LBB4_2
; %bb.1:
	v_dual_mov_b32 v1, s4 :: v_dual_mov_b32 v2, s5
	flat_load_b64 v[4:5], v[1:2]
.LBB4_2:
	v_dual_mov_b32 v7, s3 :: v_dual_mov_b32 v6, s2
	s_and_not1_b32 vcc_lo, exec_lo, s6
	s_cbranch_vccnz .LBB4_4
; %bb.3:
	v_dual_mov_b32 v1, s2 :: v_dual_mov_b32 v2, s3
	flat_load_b64 v[6:7], v[1:2]
.LBB4_4:
	s_waitcnt vmcnt(0) lgkmcnt(0)
	v_cmp_neq_f64_e32 vcc_lo, 0, v[4:5]
	v_cmp_neq_f64_e64 s2, 1.0, v[6:7]
	s_delay_alu instid0(VALU_DEP_1) | instskip(NEXT) | instid1(SALU_CYCLE_1)
	s_or_b32 s2, vcc_lo, s2
	s_and_saveexec_b32 s3, s2
	s_cbranch_execz .LBB4_27
; %bb.5:
	s_clause 0x1
	s_load_b32 s2, s[0:1], 0x88
	s_load_b128 s[20:23], s[0:1], 0x0
	s_add_u32 s3, s0, 0x88
	s_addc_u32 s5, s1, 0
	v_mov_b32_e32 v9, 0
	s_waitcnt lgkmcnt(0)
	s_cmp_lt_u32 s14, s2
	s_cselect_b32 s4, 12, 18
	s_delay_alu instid0(SALU_CYCLE_1)
	s_add_u32 s4, s3, s4
	s_addc_u32 s5, s5, 0
	s_mov_b32 s3, 0
	global_load_u16 v3, v9, s[4:5]
	s_waitcnt vmcnt(0)
	v_mad_u64_u32 v[1:2], null, s14, v3, v[0:1]
	s_delay_alu instid0(VALU_DEP_1) | instskip(NEXT) | instid1(VALU_DEP_1)
	v_lshrrev_b32_e32 v8, 4, v1
	v_cmp_gt_i32_e32 vcc_lo, s21, v8
	s_and_b32 exec_lo, exec_lo, vcc_lo
	s_cbranch_execz .LBB4_27
; %bb.6:
	s_clause 0x2
	s_load_b128 s[24:27], s[0:1], 0x60
	s_load_b64 s[18:19], s[0:1], 0x48
	s_load_b256 s[4:11], s[0:1], 0x28
	v_and_b32_e32 v28, 7, v1
	v_lshrrev_b32_e32 v19, 3, v1
	v_mul_lo_u32 v12, s2, v3
	v_lshrrev_b32_e32 v18, 3, v0
	v_cmp_neq_f64_e64 s0, 0, v[6:7]
	v_lshl_or_b32 v2, s15, 3, v28
	v_mul_u32_u24_e32 v0, 3, v28
	s_cmp_lg_u32 s16, 1
	v_bfe_u32 v20, v1, 3, 1
	s_cselect_b32 s12, -1, 0
	v_ashrrev_i32_e32 v3, 31, v2
	v_lshrrev_b32_e32 v31, 4, v12
	v_cmp_gt_i32_e64 s1, s22, v2
	s_cmp_eq_u32 s20, 0
	v_lshl_or_b32 v29, v18, 5, 0x600
	s_cselect_b32 s2, -1, 0
	v_mul_u32_u24_e32 v30, 0xc0, v18
	s_waitcnt lgkmcnt(0)
	v_mad_u64_u32 v[10:11], null, v19, s26, 0
	v_lshlrev_b32_e32 v21, 3, v0
	v_mul_lo_u32 v22, v3, s18
	v_mul_lo_u32 v23, v2, s19
	v_mad_u64_u32 v[12:13], null, v2, s18, 0
	v_mul_lo_u32 v24, v3, s26
	v_mov_b32_e32 v0, v11
	v_mul_lo_u32 v11, v2, s27
	v_mad_u64_u32 v[14:15], null, v2, s26, 0
	v_lshlrev_b64 v[2:3], 3, v[2:3]
	s_delay_alu instid0(VALU_DEP_4)
	v_mad_u64_u32 v[16:17], null, v19, s27, v[0:1]
	v_add3_u32 v13, v13, v23, v22
	v_mad_u32_u24 v33, 0xc0, v18, v21
	v_add3_u32 v15, v15, v11, v24
	v_add_co_u32 v0, vcc_lo, s24, v2
	v_mov_b32_e32 v11, v16
	v_lshlrev_b64 v[12:13], 3, v[12:13]
	v_add_co_ci_u32_e32 v16, vcc_lo, s25, v3, vcc_lo
	v_lshlrev_b64 v[2:3], 3, v[14:15]
	s_delay_alu instid0(VALU_DEP_4) | instskip(SKIP_3) | instid1(VALU_DEP_4)
	v_lshlrev_b64 v[10:11], 3, v[10:11]
	v_lshl_or_b32 v32, v28, 2, v29
	v_add_co_u32 v34, vcc_lo, s10, v12
	v_add_co_ci_u32_e32 v35, vcc_lo, s11, v13, vcc_lo
	v_add_co_u32 v10, vcc_lo, v0, v10
	v_and_b32_e32 v0, -8, v1
	v_cndmask_b32_e64 v1, 0, 1, s2
	v_add_co_ci_u32_e32 v11, vcc_lo, v16, v11, vcc_lo
	v_add_co_u32 v2, vcc_lo, s24, v2
	s_delay_alu instid0(VALU_DEP_3) | instskip(SKIP_1) | instid1(VALU_DEP_3)
	v_lshlrev_b32_e32 v1, v1, v20
	v_add_co_ci_u32_e32 v3, vcc_lo, s25, v3, vcc_lo
	v_add_co_u32 v12, vcc_lo, v2, v0
	s_delay_alu instid0(VALU_DEP_3) | instskip(SKIP_3) | instid1(VALU_DEP_1)
	v_lshlrev_b32_e32 v0, 3, v1
	s_and_b32 s2, s2, exec_lo
	s_cselect_b32 s2, 1, 2
	v_sub_co_u32 v36, s10, v28, s17
	v_sub_co_ci_u32_e64 v37, null, 0, 0, s10
	v_add_co_u32 v38, s10, s8, v0
	v_add_co_u32 v40, s2, s2, v1
	v_add_co_ci_u32_e32 v13, vcc_lo, 0, v3, vcc_lo
	v_add_co_ci_u32_e64 v39, null, s9, 0, s10
	v_add_co_ci_u32_e64 v41, null, 0, 0, s2
	s_mov_b32 s10, s17
	s_branch .LBB4_8
.LBB4_7:                                ;   in Loop: Header=BB4_8 Depth=1
	s_or_b32 exec_lo, exec_lo, s2
	v_add_nc_u32_e32 v8, v8, v31
	s_delay_alu instid0(VALU_DEP_1) | instskip(SKIP_1) | instid1(SALU_CYCLE_1)
	v_cmp_le_i32_e32 vcc_lo, s21, v8
	s_or_b32 s3, vcc_lo, s3
	s_and_not1_b32 exec_lo, exec_lo, s3
	s_cbranch_execz .LBB4_27
.LBB4_8:                                ; =>This Loop Header: Depth=1
                                        ;     Child Loop BB4_11 Depth 2
	v_lshlrev_b64 v[0:1], 3, v[8:9]
	v_mov_b32_e32 v22, 0
	v_mov_b32_e32 v23, 0
	s_mov_b32 s11, exec_lo
	s_delay_alu instid0(VALU_DEP_3) | instskip(NEXT) | instid1(VALU_DEP_4)
	v_add_co_u32 v0, vcc_lo, s4, v0
	v_add_co_ci_u32_e32 v1, vcc_lo, s5, v1, vcc_lo
	global_load_b128 v[0:3], v[0:1], off
	s_waitcnt vmcnt(0)
	v_cmpx_lt_i64_e64 v[0:1], v[2:3]
	s_cbranch_execz .LBB4_16
; %bb.9:                                ;   in Loop: Header=BB4_8 Depth=1
	v_add_co_u32 v14, vcc_lo, v36, v0
	v_add_co_ci_u32_e32 v15, vcc_lo, v37, v1, vcc_lo
	v_sub_co_u32 v2, vcc_lo, v2, s10
	v_subrev_co_ci_u32_e32 v3, vcc_lo, 0, v3, vcc_lo
	s_delay_alu instid0(VALU_DEP_3) | instskip(SKIP_3) | instid1(VALU_DEP_4)
	v_lshlrev_b64 v[16:17], 2, v[14:15]
	v_sub_co_u32 v0, vcc_lo, v0, s10
	v_subrev_co_ci_u32_e32 v1, vcc_lo, 0, v1, vcc_lo
	v_lshlrev_b64 v[18:19], 5, v[14:15]
	v_add_co_u32 v20, vcc_lo, v40, v16
	v_add_co_ci_u32_e32 v21, vcc_lo, v41, v17, vcc_lo
	v_add_co_u32 v14, vcc_lo, s6, v16
	v_add_co_ci_u32_e32 v15, vcc_lo, s7, v17, vcc_lo
	s_delay_alu instid0(VALU_DEP_3)
	v_lshlrev_b64 v[20:21], 3, v[20:21]
	v_mov_b32_e32 v16, 0
	v_mov_b32_e32 v17, 0
	v_add_co_u32 v18, vcc_lo, v38, v18
	v_add_co_ci_u32_e32 v19, vcc_lo, v39, v19, vcc_lo
	v_add_co_u32 v20, vcc_lo, s8, v20
	v_add_co_ci_u32_e32 v21, vcc_lo, s9, v21, vcc_lo
	v_dual_mov_b32 v23, v17 :: v_dual_mov_b32 v22, v16
	s_mov_b32 s13, 0
	s_branch .LBB4_11
.LBB4_10:                               ;   in Loop: Header=BB4_11 Depth=2
	s_or_b32 exec_lo, exec_lo, s2
	v_add_co_u32 v0, vcc_lo, v0, 8
	v_add_co_ci_u32_e32 v1, vcc_lo, 0, v1, vcc_lo
	v_add_co_u32 v14, vcc_lo, v14, 32
	v_add_co_ci_u32_e32 v15, vcc_lo, 0, v15, vcc_lo
	;; [unrolled: 2-line block ×3, first 2 shown]
	v_cmp_ge_i64_e32 vcc_lo, v[0:1], v[2:3]
	v_add_co_u32 v20, s2, 0x100, v20
	s_delay_alu instid0(VALU_DEP_1) | instskip(SKIP_1) | instid1(SALU_CYCLE_1)
	v_add_co_ci_u32_e64 v21, s2, 0, v21, s2
	s_or_b32 s13, vcc_lo, s13
	s_and_not1_b32 exec_lo, exec_lo, s13
	s_cbranch_execz .LBB4_15
.LBB4_11:                               ;   Parent Loop BB4_8 Depth=1
                                        ; =>  This Inner Loop Header: Depth=2
	v_add_co_u32 v24, vcc_lo, v28, v0
	v_add_co_ci_u32_e32 v25, vcc_lo, 0, v1, vcc_lo
	v_dual_mov_b32 v42, 0 :: v_dual_mov_b32 v27, v17
	v_mov_b32_e32 v26, v16
	s_delay_alu instid0(VALU_DEP_3)
	v_cmp_lt_i64_e32 vcc_lo, v[24:25], v[2:3]
	v_dual_mov_b32 v25, v17 :: v_dual_mov_b32 v24, v16
	s_and_saveexec_b32 s2, vcc_lo
	s_cbranch_execz .LBB4_13
; %bb.12:                               ;   in Loop: Header=BB4_11 Depth=2
	global_load_b32 v42, v[14:15], off
	global_load_b64 v[24:25], v[18:19], off
	global_load_b64 v[26:27], v[20:21], off
	s_waitcnt vmcnt(2)
	v_subrev_nc_u32_e32 v42, s17, v42
	s_delay_alu instid0(VALU_DEP_1)
	v_lshlrev_b32_e32 v42, 1, v42
.LBB4_13:                               ;   in Loop: Header=BB4_11 Depth=2
	s_or_b32 exec_lo, exec_lo, s2
	ds_store_b32 v32, v42
	s_waitcnt vmcnt(0)
	ds_store_2addr_b64 v33, v[24:25], v[26:27] offset1:1
	s_waitcnt lgkmcnt(0)
	s_waitcnt_vscnt null, 0x0
	s_barrier
	buffer_gl0_inv
	s_and_saveexec_b32 s2, s1
	s_cbranch_execz .LBB4_10
; %bb.14:                               ;   in Loop: Header=BB4_11 Depth=2
	ds_load_b128 v[24:27], v29
	ds_load_b128 v[42:45], v29 offset:16
	ds_load_2addr_b64 v[66:69], v30 offset0:3 offset1:4
	s_waitcnt lgkmcnt(2)
	v_ashrrev_i32_e32 v47, 31, v24
	v_mov_b32_e32 v46, v24
	v_ashrrev_i32_e32 v51, 31, v25
	v_mov_b32_e32 v50, v25
	s_waitcnt lgkmcnt(1)
	v_ashrrev_i32_e32 v59, 31, v42
	v_mov_b32_e32 v58, v42
	v_lshlrev_b64 v[46:47], 3, v[46:47]
	v_lshlrev_b64 v[24:25], 3, v[50:51]
	s_delay_alu instid0(VALU_DEP_3) | instskip(NEXT) | instid1(VALU_DEP_3)
	v_lshlrev_b64 v[58:59], 3, v[58:59]
	v_add_co_u32 v46, vcc_lo, v34, v46
	s_delay_alu instid0(VALU_DEP_4) | instskip(NEXT) | instid1(VALU_DEP_4)
	v_add_co_ci_u32_e32 v47, vcc_lo, v35, v47, vcc_lo
	v_add_co_u32 v24, vcc_lo, v34, v24
	v_add_co_ci_u32_e32 v25, vcc_lo, v35, v25, vcc_lo
	s_clause 0x1
	global_load_b128 v[46:49], v[46:47], off
	global_load_b128 v[50:53], v[24:25], off
	v_ashrrev_i32_e32 v25, 31, v26
	v_mov_b32_e32 v24, v26
	s_delay_alu instid0(VALU_DEP_1) | instskip(NEXT) | instid1(VALU_DEP_1)
	v_lshlrev_b64 v[24:25], 3, v[24:25]
	v_add_co_u32 v24, vcc_lo, v34, v24
	s_delay_alu instid0(VALU_DEP_2) | instskip(SKIP_3) | instid1(VALU_DEP_1)
	v_add_co_ci_u32_e32 v25, vcc_lo, v35, v25, vcc_lo
	global_load_b128 v[54:57], v[24:25], off
	v_ashrrev_i32_e32 v25, 31, v27
	v_mov_b32_e32 v24, v27
	v_lshlrev_b64 v[24:25], 3, v[24:25]
	s_delay_alu instid0(VALU_DEP_1) | instskip(NEXT) | instid1(VALU_DEP_2)
	v_add_co_u32 v24, vcc_lo, v34, v24
	v_add_co_ci_u32_e32 v25, vcc_lo, v35, v25, vcc_lo
	v_add_co_u32 v62, vcc_lo, v34, v58
	v_add_co_ci_u32_e32 v63, vcc_lo, v35, v59, vcc_lo
	global_load_b128 v[24:27], v[24:25], off
	ds_load_b128 v[58:61], v30
	global_load_b128 v[62:65], v[62:63], off
	s_waitcnt vmcnt(4) lgkmcnt(0)
	v_fma_f64 v[22:23], v[58:59], v[46:47], v[22:23]
	v_ashrrev_i32_e32 v47, 31, v43
	v_mov_b32_e32 v46, v43
	s_delay_alu instid0(VALU_DEP_1) | instskip(NEXT) | instid1(VALU_DEP_1)
	v_lshlrev_b64 v[42:43], 3, v[46:47]
	v_add_co_u32 v42, vcc_lo, v34, v42
	s_delay_alu instid0(VALU_DEP_2) | instskip(SKIP_4) | instid1(VALU_DEP_1)
	v_add_co_ci_u32_e32 v43, vcc_lo, v35, v43, vcc_lo
	v_fma_f64 v[22:23], v[60:61], v[48:49], v[22:23]
	global_load_b128 v[46:49], v[42:43], off
	v_ashrrev_i32_e32 v43, 31, v44
	v_mov_b32_e32 v42, v44
	v_lshlrev_b64 v[42:43], 3, v[42:43]
	s_delay_alu instid0(VALU_DEP_1) | instskip(NEXT) | instid1(VALU_DEP_2)
	v_add_co_u32 v42, vcc_lo, v34, v42
	v_add_co_ci_u32_e32 v43, vcc_lo, v35, v43, vcc_lo
	global_load_b128 v[58:61], v[42:43], off
	v_ashrrev_i32_e32 v43, 31, v45
	v_mov_b32_e32 v42, v45
	s_delay_alu instid0(VALU_DEP_1) | instskip(NEXT) | instid1(VALU_DEP_1)
	v_lshlrev_b64 v[42:43], 3, v[42:43]
	v_add_co_u32 v42, vcc_lo, v34, v42
	s_delay_alu instid0(VALU_DEP_2)
	v_add_co_ci_u32_e32 v43, vcc_lo, v35, v43, vcc_lo
	s_waitcnt vmcnt(5)
	v_fma_f64 v[22:23], v[66:67], v[50:51], v[22:23]
	global_load_b128 v[42:45], v[42:43], off
	v_fma_f64 v[22:23], v[68:69], v[52:53], v[22:23]
	ds_load_b128 v[50:53], v30 offset:48
	ds_load_2addr_b64 v[66:69], v30 offset0:9 offset1:10
	s_waitcnt vmcnt(5) lgkmcnt(1)
	v_fma_f64 v[22:23], v[50:51], v[54:55], v[22:23]
	s_delay_alu instid0(VALU_DEP_1) | instskip(SKIP_1) | instid1(VALU_DEP_1)
	v_fma_f64 v[22:23], v[52:53], v[56:57], v[22:23]
	s_waitcnt vmcnt(4) lgkmcnt(0)
	v_fma_f64 v[22:23], v[66:67], v[24:25], v[22:23]
	s_delay_alu instid0(VALU_DEP_1) | instskip(SKIP_4) | instid1(VALU_DEP_1)
	v_fma_f64 v[26:27], v[68:69], v[26:27], v[22:23]
	ds_load_b128 v[22:25], v30 offset:96
	ds_load_2addr_b64 v[50:53], v30 offset0:15 offset1:16
	s_waitcnt vmcnt(3) lgkmcnt(1)
	v_fma_f64 v[22:23], v[22:23], v[62:63], v[26:27]
	v_fma_f64 v[22:23], v[24:25], v[64:65], v[22:23]
	s_waitcnt vmcnt(2) lgkmcnt(0)
	s_delay_alu instid0(VALU_DEP_1) | instskip(NEXT) | instid1(VALU_DEP_1)
	v_fma_f64 v[22:23], v[50:51], v[46:47], v[22:23]
	v_fma_f64 v[26:27], v[52:53], v[48:49], v[22:23]
	ds_load_b128 v[22:25], v30 offset:144
	ds_load_2addr_b64 v[46:49], v30 offset0:21 offset1:22
	s_waitcnt vmcnt(1) lgkmcnt(1)
	v_fma_f64 v[22:23], v[22:23], v[58:59], v[26:27]
	s_delay_alu instid0(VALU_DEP_1) | instskip(SKIP_1) | instid1(VALU_DEP_1)
	v_fma_f64 v[22:23], v[24:25], v[60:61], v[22:23]
	s_waitcnt vmcnt(0) lgkmcnt(0)
	v_fma_f64 v[22:23], v[46:47], v[42:43], v[22:23]
	s_delay_alu instid0(VALU_DEP_1)
	v_fma_f64 v[22:23], v[48:49], v[44:45], v[22:23]
	s_branch .LBB4_10
.LBB4_15:                               ;   in Loop: Header=BB4_8 Depth=1
	s_or_b32 exec_lo, exec_lo, s13
.LBB4_16:                               ;   in Loop: Header=BB4_8 Depth=1
	s_delay_alu instid0(SALU_CYCLE_1)
	s_or_b32 exec_lo, exec_lo, s11
	s_and_saveexec_b32 s2, s1
	s_cbranch_execz .LBB4_7
; %bb.17:                               ;   in Loop: Header=BB4_8 Depth=1
	v_mul_f64 v[0:1], v[4:5], v[22:23]
	s_and_saveexec_b32 s11, s0
	s_delay_alu instid0(SALU_CYCLE_1)
	s_xor_b32 s11, exec_lo, s11
	s_cbranch_execz .LBB4_22
; %bb.18:                               ;   in Loop: Header=BB4_8 Depth=1
	s_and_b32 vcc_lo, exec_lo, s12
	s_mov_b32 s13, -1
	s_cbranch_vccz .LBB4_20
; %bb.19:                               ;   in Loop: Header=BB4_8 Depth=1
	global_load_b64 v[2:3], v[10:11], off
	s_mov_b32 s13, 0
	s_waitcnt vmcnt(0)
	v_fma_f64 v[2:3], v[6:7], v[2:3], v[0:1]
	global_store_b64 v[10:11], v[2:3], off
.LBB4_20:                               ;   in Loop: Header=BB4_8 Depth=1
	s_and_not1_b32 vcc_lo, exec_lo, s13
	s_cbranch_vccnz .LBB4_22
; %bb.21:                               ;   in Loop: Header=BB4_8 Depth=1
	global_load_b64 v[2:3], v[12:13], off
	s_waitcnt vmcnt(0)
	v_fma_f64 v[0:1], v[6:7], v[2:3], v[0:1]
	global_store_b64 v[12:13], v[0:1], off
                                        ; implicit-def: $vgpr0_vgpr1
.LBB4_22:                               ;   in Loop: Header=BB4_8 Depth=1
	s_and_not1_saveexec_b32 s11, s11
	s_cbranch_execz .LBB4_7
; %bb.23:                               ;   in Loop: Header=BB4_8 Depth=1
	s_and_b32 vcc_lo, exec_lo, s12
	s_mov_b32 s11, -1
	s_cbranch_vccz .LBB4_25
; %bb.24:                               ;   in Loop: Header=BB4_8 Depth=1
	s_mov_b32 s11, 0
	global_store_b64 v[10:11], v[0:1], off
.LBB4_25:                               ;   in Loop: Header=BB4_8 Depth=1
	s_and_not1_b32 vcc_lo, exec_lo, s11
	s_cbranch_vccnz .LBB4_7
; %bb.26:                               ;   in Loop: Header=BB4_8 Depth=1
	global_store_b64 v[12:13], v[0:1], off
	s_branch .LBB4_7
.LBB4_27:
	s_nop 0
	s_sendmsg sendmsg(MSG_DEALLOC_VGPRS)
	s_endpgm
	.section	.rodata,"a",@progbits
	.p2align	6, 0x0
	.amdhsa_kernel _ZN9rocsparseL29bsrmmnn_small_blockdim_kernelILj64ELj8ELj2EliddddEEv20rocsparse_direction_T3_S2_llNS_24const_host_device_scalarIT7_EEPKT2_PKS2_PKT4_PKT5_llS5_PT6_ll16rocsparse_order_21rocsparse_index_base_b
		.amdhsa_group_segment_fixed_size 1792
		.amdhsa_private_segment_fixed_size 0
		.amdhsa_kernarg_size 392
		.amdhsa_user_sgpr_count 14
		.amdhsa_user_sgpr_dispatch_ptr 0
		.amdhsa_user_sgpr_queue_ptr 0
		.amdhsa_user_sgpr_kernarg_segment_ptr 1
		.amdhsa_user_sgpr_dispatch_id 0
		.amdhsa_user_sgpr_private_segment_size 0
		.amdhsa_wavefront_size32 1
		.amdhsa_uses_dynamic_stack 0
		.amdhsa_enable_private_segment 0
		.amdhsa_system_sgpr_workgroup_id_x 1
		.amdhsa_system_sgpr_workgroup_id_y 1
		.amdhsa_system_sgpr_workgroup_id_z 0
		.amdhsa_system_sgpr_workgroup_info 0
		.amdhsa_system_vgpr_workitem_id 0
		.amdhsa_next_free_vgpr 70
		.amdhsa_next_free_sgpr 28
		.amdhsa_reserve_vcc 1
		.amdhsa_float_round_mode_32 0
		.amdhsa_float_round_mode_16_64 0
		.amdhsa_float_denorm_mode_32 3
		.amdhsa_float_denorm_mode_16_64 3
		.amdhsa_dx10_clamp 1
		.amdhsa_ieee_mode 1
		.amdhsa_fp16_overflow 0
		.amdhsa_workgroup_processor_mode 1
		.amdhsa_memory_ordered 1
		.amdhsa_forward_progress 0
		.amdhsa_shared_vgpr_count 0
		.amdhsa_exception_fp_ieee_invalid_op 0
		.amdhsa_exception_fp_denorm_src 0
		.amdhsa_exception_fp_ieee_div_zero 0
		.amdhsa_exception_fp_ieee_overflow 0
		.amdhsa_exception_fp_ieee_underflow 0
		.amdhsa_exception_fp_ieee_inexact 0
		.amdhsa_exception_int_div_zero 0
	.end_amdhsa_kernel
	.section	.text._ZN9rocsparseL29bsrmmnn_small_blockdim_kernelILj64ELj8ELj2EliddddEEv20rocsparse_direction_T3_S2_llNS_24const_host_device_scalarIT7_EEPKT2_PKS2_PKT4_PKT5_llS5_PT6_ll16rocsparse_order_21rocsparse_index_base_b,"axG",@progbits,_ZN9rocsparseL29bsrmmnn_small_blockdim_kernelILj64ELj8ELj2EliddddEEv20rocsparse_direction_T3_S2_llNS_24const_host_device_scalarIT7_EEPKT2_PKS2_PKT4_PKT5_llS5_PT6_ll16rocsparse_order_21rocsparse_index_base_b,comdat
.Lfunc_end4:
	.size	_ZN9rocsparseL29bsrmmnn_small_blockdim_kernelILj64ELj8ELj2EliddddEEv20rocsparse_direction_T3_S2_llNS_24const_host_device_scalarIT7_EEPKT2_PKS2_PKT4_PKT5_llS5_PT6_ll16rocsparse_order_21rocsparse_index_base_b, .Lfunc_end4-_ZN9rocsparseL29bsrmmnn_small_blockdim_kernelILj64ELj8ELj2EliddddEEv20rocsparse_direction_T3_S2_llNS_24const_host_device_scalarIT7_EEPKT2_PKS2_PKT4_PKT5_llS5_PT6_ll16rocsparse_order_21rocsparse_index_base_b
                                        ; -- End function
	.section	.AMDGPU.csdata,"",@progbits
; Kernel info:
; codeLenInByte = 1928
; NumSgprs: 30
; NumVgprs: 70
; ScratchSize: 0
; MemoryBound: 0
; FloatMode: 240
; IeeeMode: 1
; LDSByteSize: 1792 bytes/workgroup (compile time only)
; SGPRBlocks: 3
; VGPRBlocks: 8
; NumSGPRsForWavesPerEU: 30
; NumVGPRsForWavesPerEU: 70
; Occupancy: 16
; WaveLimiterHint : 1
; COMPUTE_PGM_RSRC2:SCRATCH_EN: 0
; COMPUTE_PGM_RSRC2:USER_SGPR: 14
; COMPUTE_PGM_RSRC2:TRAP_HANDLER: 0
; COMPUTE_PGM_RSRC2:TGID_X_EN: 1
; COMPUTE_PGM_RSRC2:TGID_Y_EN: 1
; COMPUTE_PGM_RSRC2:TGID_Z_EN: 0
; COMPUTE_PGM_RSRC2:TIDIG_COMP_CNT: 0
	.section	.text._ZN9rocsparseL29bsrmmnn_small_blockdim_kernelILj64ELj8ELj2EllddddEEv20rocsparse_direction_T3_S2_llNS_24const_host_device_scalarIT7_EEPKT2_PKS2_PKT4_PKT5_llS5_PT6_ll16rocsparse_order_21rocsparse_index_base_b,"axG",@progbits,_ZN9rocsparseL29bsrmmnn_small_blockdim_kernelILj64ELj8ELj2EllddddEEv20rocsparse_direction_T3_S2_llNS_24const_host_device_scalarIT7_EEPKT2_PKS2_PKT4_PKT5_llS5_PT6_ll16rocsparse_order_21rocsparse_index_base_b,comdat
	.globl	_ZN9rocsparseL29bsrmmnn_small_blockdim_kernelILj64ELj8ELj2EllddddEEv20rocsparse_direction_T3_S2_llNS_24const_host_device_scalarIT7_EEPKT2_PKS2_PKT4_PKT5_llS5_PT6_ll16rocsparse_order_21rocsparse_index_base_b ; -- Begin function _ZN9rocsparseL29bsrmmnn_small_blockdim_kernelILj64ELj8ELj2EllddddEEv20rocsparse_direction_T3_S2_llNS_24const_host_device_scalarIT7_EEPKT2_PKS2_PKT4_PKT5_llS5_PT6_ll16rocsparse_order_21rocsparse_index_base_b
	.p2align	8
	.type	_ZN9rocsparseL29bsrmmnn_small_blockdim_kernelILj64ELj8ELj2EllddddEEv20rocsparse_direction_T3_S2_llNS_24const_host_device_scalarIT7_EEPKT2_PKS2_PKT4_PKT5_llS5_PT6_ll16rocsparse_order_21rocsparse_index_base_b,@function
_ZN9rocsparseL29bsrmmnn_small_blockdim_kernelILj64ELj8ELj2EllddddEEv20rocsparse_direction_T3_S2_llNS_24const_host_device_scalarIT7_EEPKT2_PKS2_PKT4_PKT5_llS5_PT6_ll16rocsparse_order_21rocsparse_index_base_b: ; @_ZN9rocsparseL29bsrmmnn_small_blockdim_kernelILj64ELj8ELj2EllddddEEv20rocsparse_direction_T3_S2_llNS_24const_host_device_scalarIT7_EEPKT2_PKS2_PKT4_PKT5_llS5_PT6_ll16rocsparse_order_21rocsparse_index_base_b
; %bb.0:
	s_clause 0x2
	s_load_b128 s[20:23], s[0:1], 0x80
	s_load_b64 s[4:5], s[0:1], 0x28
	s_load_b64 s[2:3], s[0:1], 0x60
	s_waitcnt lgkmcnt(0)
	s_bitcmp1_b32 s22, 0
	v_dual_mov_b32 v4, s4 :: v_dual_mov_b32 v5, s5
	s_cselect_b32 s6, -1, 0
	s_delay_alu instid0(SALU_CYCLE_1)
	s_and_b32 vcc_lo, exec_lo, s6
	s_xor_b32 s6, s6, -1
	s_cbranch_vccnz .LBB5_2
; %bb.1:
	v_dual_mov_b32 v1, s4 :: v_dual_mov_b32 v2, s5
	flat_load_b64 v[4:5], v[1:2]
.LBB5_2:
	v_dual_mov_b32 v7, s3 :: v_dual_mov_b32 v6, s2
	s_and_not1_b32 vcc_lo, exec_lo, s6
	s_cbranch_vccnz .LBB5_4
; %bb.3:
	v_dual_mov_b32 v1, s2 :: v_dual_mov_b32 v2, s3
	flat_load_b64 v[6:7], v[1:2]
.LBB5_4:
	s_waitcnt vmcnt(0) lgkmcnt(0)
	v_cmp_neq_f64_e32 vcc_lo, 0, v[4:5]
	v_cmp_neq_f64_e64 s2, 1.0, v[6:7]
	s_delay_alu instid0(VALU_DEP_1) | instskip(NEXT) | instid1(SALU_CYCLE_1)
	s_or_b32 s2, vcc_lo, s2
	s_and_saveexec_b32 s3, s2
	s_cbranch_execz .LBB5_27
; %bb.5:
	s_clause 0x1
	s_load_b32 s2, s[0:1], 0x90
	s_load_b128 s[16:19], s[0:1], 0x8
	s_add_u32 s3, s0, 0x90
	s_addc_u32 s5, s1, 0
	v_mov_b32_e32 v9, 0
	s_waitcnt lgkmcnt(0)
	s_cmp_lt_u32 s14, s2
	s_cselect_b32 s4, 12, 18
	s_delay_alu instid0(SALU_CYCLE_1)
	s_add_u32 s4, s3, s4
	s_addc_u32 s5, s5, 0
	s_mov_b32 s3, 0
	global_load_u16 v3, v9, s[4:5]
	s_waitcnt vmcnt(0)
	v_mad_u64_u32 v[1:2], null, s14, v3, v[0:1]
	s_delay_alu instid0(VALU_DEP_1) | instskip(NEXT) | instid1(VALU_DEP_1)
	v_lshrrev_b32_e32 v8, 4, v1
	v_cmp_gt_i64_e32 vcc_lo, s[16:17], v[8:9]
	s_and_b32 exec_lo, exec_lo, vcc_lo
	s_cbranch_execz .LBB5_27
; %bb.6:
	s_clause 0x2
	s_load_b128 s[24:27], s[0:1], 0x68
	s_load_b256 s[4:11], s[0:1], 0x30
	s_load_b64 s[22:23], s[0:1], 0x50
	v_lshrrev_b32_e32 v20, 3, v1
	v_dual_mov_b32 v15, v9 :: v_dual_and_b32 v30, 7, v1
	v_dual_mov_b32 v2, v9 :: v_dual_and_b32 v23, -8, v1
	v_bfe_u32 v14, v1, 3, 1
	s_delay_alu instid0(VALU_DEP_3)
	v_lshl_or_b32 v1, s15, 3, v30
	v_mul_lo_u32 v3, s2, v3
	v_lshrrev_b32_e32 v21, 3, v0
	v_mul_u32_u24_e32 v22, 3, v30
	s_load_b32 s2, s[0:1], 0x0
	v_cmp_gt_i64_e64 s1, s[18:19], v[1:2]
	v_cmp_neq_f64_e64 s0, 0, v[6:7]
	v_lshl_or_b32 v31, v21, 6, 0x600
	v_mul_u32_u24_e32 v32, 0xc0, v21
	v_lshrrev_b32_e32 v33, 4, v3
	s_cmp_lg_u32 s20, 1
	s_waitcnt lgkmcnt(0)
	v_mad_u64_u32 v[10:11], null, v20, s26, 0
	v_mad_u64_u32 v[12:13], null, v1, s22, 0
	;; [unrolled: 1-line block ×3, first 2 shown]
	s_cselect_b32 s12, -1, 0
	v_lshl_or_b32 v34, v30, 3, v31
	s_delay_alu instid0(VALU_DEP_4) | instskip(SKIP_1) | instid1(VALU_DEP_1)
	v_dual_mov_b32 v0, v11 :: v_dual_lshlrev_b32 v3, 3, v22
	s_cmp_eq_u32 s2, 0
	v_mad_u64_u32 v[18:19], null, v20, s27, v[0:1]
	v_lshlrev_b64 v[19:20], 3, v[1:2]
	v_mov_b32_e32 v0, v13
	v_mov_b32_e32 v2, v17
	v_mad_u32_u24 v35, 0xc0, v21, v3
	v_mov_b32_e32 v11, v18
	s_delay_alu instid0(VALU_DEP_4) | instskip(NEXT) | instid1(VALU_DEP_4)
	v_mad_u64_u32 v[17:18], null, v1, s23, v[0:1]
	v_mad_u64_u32 v[21:22], null, v1, s27, v[2:3]
	s_delay_alu instid0(VALU_DEP_3) | instskip(SKIP_4) | instid1(VALU_DEP_4)
	v_lshlrev_b64 v[0:1], 3, v[10:11]
	v_add_co_u32 v2, vcc_lo, s24, v19
	v_add_co_ci_u32_e32 v3, vcc_lo, s25, v20, vcc_lo
	v_mov_b32_e32 v13, v17
	v_mov_b32_e32 v17, v21
	v_add_co_u32 v10, vcc_lo, v2, v0
	s_delay_alu instid0(VALU_DEP_4) | instskip(NEXT) | instid1(VALU_DEP_3)
	v_add_co_ci_u32_e32 v11, vcc_lo, v3, v1, vcc_lo
	v_lshlrev_b64 v[0:1], 3, v[16:17]
	v_add_co_u32 v16, s2, s24, v23
	s_delay_alu instid0(VALU_DEP_1)
	v_add_co_ci_u32_e64 v17, null, s25, 0, s2
	s_cselect_b32 s2, -1, 0
	v_lshlrev_b64 v[2:3], 3, v[12:13]
	v_cndmask_b32_e64 v18, 0, 1, s2
	v_add_co_u32 v12, vcc_lo, v16, v0
	v_add_co_ci_u32_e32 v13, vcc_lo, v17, v1, vcc_lo
	s_delay_alu instid0(VALU_DEP_3) | instskip(SKIP_3) | instid1(VALU_DEP_3)
	v_lshlrev_b64 v[0:1], v18, v[14:15]
	v_add_co_u32 v36, vcc_lo, s10, v2
	v_add_co_ci_u32_e32 v37, vcc_lo, s11, v3, vcc_lo
	s_and_b32 s2, s2, exec_lo
	v_lshlrev_b64 v[2:3], 3, v[0:1]
	s_cselect_b32 s2, 1, 2
	v_sub_co_u32 v38, s10, v30, s21
	s_delay_alu instid0(VALU_DEP_1) | instskip(NEXT) | instid1(VALU_DEP_3)
	v_sub_co_ci_u32_e64 v39, null, 0, 0, s10
	v_add_co_u32 v40, vcc_lo, s8, v2
	s_delay_alu instid0(VALU_DEP_4)
	v_add_co_ci_u32_e32 v41, vcc_lo, s9, v3, vcc_lo
	v_add_co_u32 v42, vcc_lo, s2, v0
	v_add_co_ci_u32_e32 v43, vcc_lo, 0, v1, vcc_lo
	s_mov_b32 s10, s21
	s_branch .LBB5_8
.LBB5_7:                                ;   in Loop: Header=BB5_8 Depth=1
	s_or_b32 exec_lo, exec_lo, s2
	v_add_co_u32 v8, vcc_lo, v8, v33
	v_add_co_ci_u32_e32 v9, vcc_lo, 0, v9, vcc_lo
	s_delay_alu instid0(VALU_DEP_1) | instskip(SKIP_1) | instid1(SALU_CYCLE_1)
	v_cmp_le_i64_e32 vcc_lo, s[16:17], v[8:9]
	s_or_b32 s3, vcc_lo, s3
	s_and_not1_b32 exec_lo, exec_lo, s3
	s_cbranch_execz .LBB5_27
.LBB5_8:                                ; =>This Loop Header: Depth=1
                                        ;     Child Loop BB5_11 Depth 2
	v_lshlrev_b64 v[0:1], 3, v[8:9]
	v_mov_b32_e32 v22, 0
	v_mov_b32_e32 v23, 0
	s_mov_b32 s11, exec_lo
	s_delay_alu instid0(VALU_DEP_3) | instskip(NEXT) | instid1(VALU_DEP_4)
	v_add_co_u32 v0, vcc_lo, s4, v0
	v_add_co_ci_u32_e32 v1, vcc_lo, s5, v1, vcc_lo
	global_load_b128 v[0:3], v[0:1], off
	s_waitcnt vmcnt(0)
	v_cmpx_lt_i64_e64 v[0:1], v[2:3]
	s_cbranch_execz .LBB5_16
; %bb.9:                                ;   in Loop: Header=BB5_8 Depth=1
	v_add_co_u32 v14, vcc_lo, v38, v0
	v_add_co_ci_u32_e32 v15, vcc_lo, v39, v1, vcc_lo
	v_sub_co_u32 v2, vcc_lo, v2, s10
	v_subrev_co_ci_u32_e32 v3, vcc_lo, 0, v3, vcc_lo
	s_delay_alu instid0(VALU_DEP_3) | instskip(SKIP_3) | instid1(VALU_DEP_4)
	v_lshlrev_b64 v[16:17], 2, v[14:15]
	v_sub_co_u32 v0, vcc_lo, v0, s10
	v_subrev_co_ci_u32_e32 v1, vcc_lo, 0, v1, vcc_lo
	v_lshlrev_b64 v[18:19], 3, v[14:15]
	v_add_co_u32 v16, vcc_lo, v42, v16
	v_add_co_ci_u32_e32 v17, vcc_lo, v43, v17, vcc_lo
	v_lshlrev_b64 v[20:21], 5, v[14:15]
	s_delay_alu instid0(VALU_DEP_4) | instskip(NEXT) | instid1(VALU_DEP_3)
	v_add_co_u32 v14, vcc_lo, s6, v18
	v_lshlrev_b64 v[22:23], 3, v[16:17]
	v_add_co_ci_u32_e32 v15, vcc_lo, s7, v19, vcc_lo
	v_mov_b32_e32 v16, 0
	v_mov_b32_e32 v17, 0
	v_add_co_u32 v18, vcc_lo, v40, v20
	v_add_co_ci_u32_e32 v19, vcc_lo, v41, v21, vcc_lo
	v_add_co_u32 v20, vcc_lo, s8, v22
	v_add_co_ci_u32_e32 v21, vcc_lo, s9, v23, vcc_lo
	v_dual_mov_b32 v23, v17 :: v_dual_mov_b32 v22, v16
	s_mov_b32 s13, 0
	s_branch .LBB5_11
.LBB5_10:                               ;   in Loop: Header=BB5_11 Depth=2
	s_or_b32 exec_lo, exec_lo, s2
	v_add_co_u32 v0, vcc_lo, v0, 8
	v_add_co_ci_u32_e32 v1, vcc_lo, 0, v1, vcc_lo
	v_add_co_u32 v14, vcc_lo, v14, 64
	v_add_co_ci_u32_e32 v15, vcc_lo, 0, v15, vcc_lo
	;; [unrolled: 2-line block ×3, first 2 shown]
	v_cmp_ge_i64_e32 vcc_lo, v[0:1], v[2:3]
	v_add_co_u32 v20, s2, 0x100, v20
	s_delay_alu instid0(VALU_DEP_1) | instskip(SKIP_1) | instid1(SALU_CYCLE_1)
	v_add_co_ci_u32_e64 v21, s2, 0, v21, s2
	s_or_b32 s13, vcc_lo, s13
	s_and_not1_b32 exec_lo, exec_lo, s13
	s_cbranch_execz .LBB5_15
.LBB5_11:                               ;   Parent Loop BB5_8 Depth=1
                                        ; =>  This Inner Loop Header: Depth=2
	v_add_co_u32 v24, vcc_lo, v30, v0
	v_add_co_ci_u32_e32 v25, vcc_lo, 0, v1, vcc_lo
	v_dual_mov_b32 v29, v17 :: v_dual_mov_b32 v28, v16
	v_dual_mov_b32 v27, v17 :: v_dual_mov_b32 v26, v16
	s_delay_alu instid0(VALU_DEP_3)
	v_cmp_lt_i64_e32 vcc_lo, v[24:25], v[2:3]
	v_dual_mov_b32 v25, v17 :: v_dual_mov_b32 v24, v16
	s_and_saveexec_b32 s2, vcc_lo
	s_cbranch_execz .LBB5_13
; %bb.12:                               ;   in Loop: Header=BB5_11 Depth=2
	global_load_b64 v[28:29], v[14:15], off
	global_load_b64 v[24:25], v[18:19], off
	;; [unrolled: 1-line block ×3, first 2 shown]
	s_waitcnt vmcnt(2)
	v_sub_co_u32 v28, vcc_lo, v28, s10
	v_subrev_co_ci_u32_e32 v29, vcc_lo, 0, v29, vcc_lo
	s_delay_alu instid0(VALU_DEP_1)
	v_lshlrev_b64 v[28:29], 1, v[28:29]
.LBB5_13:                               ;   in Loop: Header=BB5_11 Depth=2
	s_or_b32 exec_lo, exec_lo, s2
	ds_store_b64 v34, v[28:29]
	s_waitcnt vmcnt(0)
	ds_store_2addr_b64 v35, v[24:25], v[26:27] offset1:1
	s_waitcnt lgkmcnt(0)
	s_waitcnt_vscnt null, 0x0
	s_barrier
	buffer_gl0_inv
	s_and_saveexec_b32 s2, s1
	s_cbranch_execz .LBB5_10
; %bb.14:                               ;   in Loop: Header=BB5_11 Depth=2
	ds_load_b128 v[24:27], v31
	ds_load_b128 v[44:47], v31 offset:16
	s_waitcnt lgkmcnt(1)
	v_lshlrev_b64 v[24:25], 3, v[24:25]
	s_waitcnt lgkmcnt(0)
	v_lshlrev_b64 v[28:29], 3, v[44:45]
	s_delay_alu instid0(VALU_DEP_2) | instskip(NEXT) | instid1(VALU_DEP_3)
	v_add_co_u32 v24, vcc_lo, v36, v24
	v_add_co_ci_u32_e32 v25, vcc_lo, v37, v25, vcc_lo
	global_load_b128 v[48:51], v[24:25], off
	v_lshlrev_b64 v[24:25], 3, v[26:27]
	s_delay_alu instid0(VALU_DEP_1) | instskip(NEXT) | instid1(VALU_DEP_2)
	v_add_co_u32 v24, vcc_lo, v36, v24
	v_add_co_ci_u32_e32 v25, vcc_lo, v37, v25, vcc_lo
	v_add_co_u32 v28, vcc_lo, v36, v28
	v_add_co_ci_u32_e32 v29, vcc_lo, v37, v29, vcc_lo
	s_clause 0x1
	global_load_b128 v[24:27], v[24:25], off
	global_load_b128 v[52:55], v[28:29], off
	v_lshlrev_b64 v[28:29], 3, v[46:47]
	s_delay_alu instid0(VALU_DEP_1) | instskip(NEXT) | instid1(VALU_DEP_2)
	v_add_co_u32 v28, vcc_lo, v36, v28
	v_add_co_ci_u32_e32 v29, vcc_lo, v37, v29, vcc_lo
	global_load_b128 v[44:47], v[28:29], off
	ds_load_b128 v[56:59], v31 offset:32
	ds_load_b128 v[60:63], v31 offset:48
	ds_load_b128 v[64:67], v32
	ds_load_2addr_b64 v[72:75], v32 offset0:3 offset1:4
	s_waitcnt lgkmcnt(3)
	v_lshlrev_b64 v[28:29], 3, v[56:57]
	s_delay_alu instid0(VALU_DEP_1) | instskip(NEXT) | instid1(VALU_DEP_2)
	v_add_co_u32 v28, vcc_lo, v36, v28
	v_add_co_ci_u32_e32 v29, vcc_lo, v37, v29, vcc_lo
	global_load_b128 v[68:71], v[28:29], off
	v_lshlrev_b64 v[28:29], 3, v[58:59]
	ds_load_2addr_b64 v[56:59], v32 offset0:9 offset1:10
	v_add_co_u32 v28, vcc_lo, v36, v28
	v_add_co_ci_u32_e32 v29, vcc_lo, v37, v29, vcc_lo
	s_waitcnt vmcnt(4) lgkmcnt(2)
	v_fma_f64 v[22:23], v[64:65], v[48:49], v[22:23]
	s_delay_alu instid0(VALU_DEP_1) | instskip(SKIP_3) | instid1(VALU_DEP_1)
	v_fma_f64 v[22:23], v[66:67], v[50:51], v[22:23]
	global_load_b128 v[48:51], v[28:29], off
	s_waitcnt vmcnt(4) lgkmcnt(1)
	v_fma_f64 v[22:23], v[72:73], v[24:25], v[22:23]
	v_fma_f64 v[64:65], v[74:75], v[26:27], v[22:23]
	v_lshlrev_b64 v[22:23], 3, v[60:61]
	s_delay_alu instid0(VALU_DEP_1) | instskip(NEXT) | instid1(VALU_DEP_2)
	v_add_co_u32 v26, vcc_lo, v36, v22
	v_add_co_ci_u32_e32 v27, vcc_lo, v37, v23, vcc_lo
	ds_load_b128 v[22:25], v32 offset:48
	global_load_b128 v[26:29], v[26:27], off
	s_waitcnt vmcnt(4) lgkmcnt(0)
	v_fma_f64 v[22:23], v[22:23], v[52:53], v[64:65]
	s_delay_alu instid0(VALU_DEP_1) | instskip(SKIP_1) | instid1(VALU_DEP_1)
	v_fma_f64 v[52:53], v[24:25], v[54:55], v[22:23]
	v_lshlrev_b64 v[22:23], 3, v[62:63]
	v_add_co_u32 v22, vcc_lo, v36, v22
	s_delay_alu instid0(VALU_DEP_2) | instskip(SKIP_3) | instid1(VALU_DEP_1)
	v_add_co_ci_u32_e32 v23, vcc_lo, v37, v23, vcc_lo
	global_load_b128 v[22:25], v[22:23], off
	s_waitcnt vmcnt(4)
	v_fma_f64 v[44:45], v[56:57], v[44:45], v[52:53]
	v_fma_f64 v[56:57], v[58:59], v[46:47], v[44:45]
	ds_load_b128 v[44:47], v32 offset:96
	ds_load_2addr_b64 v[52:55], v32 offset0:15 offset1:16
	s_waitcnt vmcnt(3) lgkmcnt(1)
	v_fma_f64 v[44:45], v[44:45], v[68:69], v[56:57]
	s_delay_alu instid0(VALU_DEP_1) | instskip(SKIP_1) | instid1(VALU_DEP_1)
	v_fma_f64 v[44:45], v[46:47], v[70:71], v[44:45]
	s_waitcnt vmcnt(2) lgkmcnt(0)
	v_fma_f64 v[44:45], v[52:53], v[48:49], v[44:45]
	s_delay_alu instid0(VALU_DEP_1) | instskip(SKIP_4) | instid1(VALU_DEP_1)
	v_fma_f64 v[52:53], v[54:55], v[50:51], v[44:45]
	ds_load_b128 v[44:47], v32 offset:144
	ds_load_2addr_b64 v[48:51], v32 offset0:21 offset1:22
	s_waitcnt vmcnt(1) lgkmcnt(1)
	v_fma_f64 v[26:27], v[44:45], v[26:27], v[52:53]
	v_fma_f64 v[26:27], v[46:47], v[28:29], v[26:27]
	s_waitcnt vmcnt(0) lgkmcnt(0)
	s_delay_alu instid0(VALU_DEP_1) | instskip(NEXT) | instid1(VALU_DEP_1)
	v_fma_f64 v[22:23], v[48:49], v[22:23], v[26:27]
	v_fma_f64 v[22:23], v[50:51], v[24:25], v[22:23]
	s_branch .LBB5_10
.LBB5_15:                               ;   in Loop: Header=BB5_8 Depth=1
	s_or_b32 exec_lo, exec_lo, s13
.LBB5_16:                               ;   in Loop: Header=BB5_8 Depth=1
	s_delay_alu instid0(SALU_CYCLE_1)
	s_or_b32 exec_lo, exec_lo, s11
	s_and_saveexec_b32 s2, s1
	s_cbranch_execz .LBB5_7
; %bb.17:                               ;   in Loop: Header=BB5_8 Depth=1
	v_mul_f64 v[0:1], v[4:5], v[22:23]
	s_and_saveexec_b32 s11, s0
	s_delay_alu instid0(SALU_CYCLE_1)
	s_xor_b32 s11, exec_lo, s11
	s_cbranch_execz .LBB5_22
; %bb.18:                               ;   in Loop: Header=BB5_8 Depth=1
	s_and_b32 vcc_lo, exec_lo, s12
	s_mov_b32 s13, -1
	s_cbranch_vccz .LBB5_20
; %bb.19:                               ;   in Loop: Header=BB5_8 Depth=1
	global_load_b64 v[2:3], v[10:11], off
	s_mov_b32 s13, 0
	s_waitcnt vmcnt(0)
	v_fma_f64 v[2:3], v[6:7], v[2:3], v[0:1]
	global_store_b64 v[10:11], v[2:3], off
.LBB5_20:                               ;   in Loop: Header=BB5_8 Depth=1
	s_and_not1_b32 vcc_lo, exec_lo, s13
	s_cbranch_vccnz .LBB5_22
; %bb.21:                               ;   in Loop: Header=BB5_8 Depth=1
	global_load_b64 v[2:3], v[12:13], off
	s_waitcnt vmcnt(0)
	v_fma_f64 v[0:1], v[6:7], v[2:3], v[0:1]
	global_store_b64 v[12:13], v[0:1], off
                                        ; implicit-def: $vgpr0_vgpr1
.LBB5_22:                               ;   in Loop: Header=BB5_8 Depth=1
	s_and_not1_saveexec_b32 s11, s11
	s_cbranch_execz .LBB5_7
; %bb.23:                               ;   in Loop: Header=BB5_8 Depth=1
	s_and_b32 vcc_lo, exec_lo, s12
	s_mov_b32 s11, -1
	s_cbranch_vccz .LBB5_25
; %bb.24:                               ;   in Loop: Header=BB5_8 Depth=1
	s_mov_b32 s11, 0
	global_store_b64 v[10:11], v[0:1], off
.LBB5_25:                               ;   in Loop: Header=BB5_8 Depth=1
	s_and_not1_b32 vcc_lo, exec_lo, s11
	s_cbranch_vccnz .LBB5_7
; %bb.26:                               ;   in Loop: Header=BB5_8 Depth=1
	global_store_b64 v[12:13], v[0:1], off
	s_branch .LBB5_7
.LBB5_27:
	s_nop 0
	s_sendmsg sendmsg(MSG_DEALLOC_VGPRS)
	s_endpgm
	.section	.rodata,"a",@progbits
	.p2align	6, 0x0
	.amdhsa_kernel _ZN9rocsparseL29bsrmmnn_small_blockdim_kernelILj64ELj8ELj2EllddddEEv20rocsparse_direction_T3_S2_llNS_24const_host_device_scalarIT7_EEPKT2_PKS2_PKT4_PKT5_llS5_PT6_ll16rocsparse_order_21rocsparse_index_base_b
		.amdhsa_group_segment_fixed_size 2048
		.amdhsa_private_segment_fixed_size 0
		.amdhsa_kernarg_size 400
		.amdhsa_user_sgpr_count 14
		.amdhsa_user_sgpr_dispatch_ptr 0
		.amdhsa_user_sgpr_queue_ptr 0
		.amdhsa_user_sgpr_kernarg_segment_ptr 1
		.amdhsa_user_sgpr_dispatch_id 0
		.amdhsa_user_sgpr_private_segment_size 0
		.amdhsa_wavefront_size32 1
		.amdhsa_uses_dynamic_stack 0
		.amdhsa_enable_private_segment 0
		.amdhsa_system_sgpr_workgroup_id_x 1
		.amdhsa_system_sgpr_workgroup_id_y 1
		.amdhsa_system_sgpr_workgroup_id_z 0
		.amdhsa_system_sgpr_workgroup_info 0
		.amdhsa_system_vgpr_workitem_id 0
		.amdhsa_next_free_vgpr 76
		.amdhsa_next_free_sgpr 28
		.amdhsa_reserve_vcc 1
		.amdhsa_float_round_mode_32 0
		.amdhsa_float_round_mode_16_64 0
		.amdhsa_float_denorm_mode_32 3
		.amdhsa_float_denorm_mode_16_64 3
		.amdhsa_dx10_clamp 1
		.amdhsa_ieee_mode 1
		.amdhsa_fp16_overflow 0
		.amdhsa_workgroup_processor_mode 1
		.amdhsa_memory_ordered 1
		.amdhsa_forward_progress 0
		.amdhsa_shared_vgpr_count 0
		.amdhsa_exception_fp_ieee_invalid_op 0
		.amdhsa_exception_fp_denorm_src 0
		.amdhsa_exception_fp_ieee_div_zero 0
		.amdhsa_exception_fp_ieee_overflow 0
		.amdhsa_exception_fp_ieee_underflow 0
		.amdhsa_exception_fp_ieee_inexact 0
		.amdhsa_exception_int_div_zero 0
	.end_amdhsa_kernel
	.section	.text._ZN9rocsparseL29bsrmmnn_small_blockdim_kernelILj64ELj8ELj2EllddddEEv20rocsparse_direction_T3_S2_llNS_24const_host_device_scalarIT7_EEPKT2_PKS2_PKT4_PKT5_llS5_PT6_ll16rocsparse_order_21rocsparse_index_base_b,"axG",@progbits,_ZN9rocsparseL29bsrmmnn_small_blockdim_kernelILj64ELj8ELj2EllddddEEv20rocsparse_direction_T3_S2_llNS_24const_host_device_scalarIT7_EEPKT2_PKS2_PKT4_PKT5_llS5_PT6_ll16rocsparse_order_21rocsparse_index_base_b,comdat
.Lfunc_end5:
	.size	_ZN9rocsparseL29bsrmmnn_small_blockdim_kernelILj64ELj8ELj2EllddddEEv20rocsparse_direction_T3_S2_llNS_24const_host_device_scalarIT7_EEPKT2_PKS2_PKT4_PKT5_llS5_PT6_ll16rocsparse_order_21rocsparse_index_base_b, .Lfunc_end5-_ZN9rocsparseL29bsrmmnn_small_blockdim_kernelILj64ELj8ELj2EllddddEEv20rocsparse_direction_T3_S2_llNS_24const_host_device_scalarIT7_EEPKT2_PKS2_PKT4_PKT5_llS5_PT6_ll16rocsparse_order_21rocsparse_index_base_b
                                        ; -- End function
	.section	.AMDGPU.csdata,"",@progbits
; Kernel info:
; codeLenInByte = 1920
; NumSgprs: 30
; NumVgprs: 76
; ScratchSize: 0
; MemoryBound: 0
; FloatMode: 240
; IeeeMode: 1
; LDSByteSize: 2048 bytes/workgroup (compile time only)
; SGPRBlocks: 3
; VGPRBlocks: 9
; NumSGPRsForWavesPerEU: 30
; NumVGPRsForWavesPerEU: 76
; Occupancy: 16
; WaveLimiterHint : 1
; COMPUTE_PGM_RSRC2:SCRATCH_EN: 0
; COMPUTE_PGM_RSRC2:USER_SGPR: 14
; COMPUTE_PGM_RSRC2:TRAP_HANDLER: 0
; COMPUTE_PGM_RSRC2:TGID_X_EN: 1
; COMPUTE_PGM_RSRC2:TGID_Y_EN: 1
; COMPUTE_PGM_RSRC2:TGID_Z_EN: 0
; COMPUTE_PGM_RSRC2:TIDIG_COMP_CNT: 0
	.section	.text._ZN9rocsparseL29bsrmmnn_small_blockdim_kernelILj64ELj8ELj2Eii21rocsparse_complex_numIfES2_S2_S2_EEv20rocsparse_direction_T3_S4_llNS_24const_host_device_scalarIT7_EEPKT2_PKS4_PKT4_PKT5_llS7_PT6_ll16rocsparse_order_21rocsparse_index_base_b,"axG",@progbits,_ZN9rocsparseL29bsrmmnn_small_blockdim_kernelILj64ELj8ELj2Eii21rocsparse_complex_numIfES2_S2_S2_EEv20rocsparse_direction_T3_S4_llNS_24const_host_device_scalarIT7_EEPKT2_PKS4_PKT4_PKT5_llS7_PT6_ll16rocsparse_order_21rocsparse_index_base_b,comdat
	.globl	_ZN9rocsparseL29bsrmmnn_small_blockdim_kernelILj64ELj8ELj2Eii21rocsparse_complex_numIfES2_S2_S2_EEv20rocsparse_direction_T3_S4_llNS_24const_host_device_scalarIT7_EEPKT2_PKS4_PKT4_PKT5_llS7_PT6_ll16rocsparse_order_21rocsparse_index_base_b ; -- Begin function _ZN9rocsparseL29bsrmmnn_small_blockdim_kernelILj64ELj8ELj2Eii21rocsparse_complex_numIfES2_S2_S2_EEv20rocsparse_direction_T3_S4_llNS_24const_host_device_scalarIT7_EEPKT2_PKS4_PKT4_PKT5_llS7_PT6_ll16rocsparse_order_21rocsparse_index_base_b
	.p2align	8
	.type	_ZN9rocsparseL29bsrmmnn_small_blockdim_kernelILj64ELj8ELj2Eii21rocsparse_complex_numIfES2_S2_S2_EEv20rocsparse_direction_T3_S4_llNS_24const_host_device_scalarIT7_EEPKT2_PKS4_PKT4_PKT5_llS7_PT6_ll16rocsparse_order_21rocsparse_index_base_b,@function
_ZN9rocsparseL29bsrmmnn_small_blockdim_kernelILj64ELj8ELj2Eii21rocsparse_complex_numIfES2_S2_S2_EEv20rocsparse_direction_T3_S4_llNS_24const_host_device_scalarIT7_EEPKT2_PKS4_PKT4_PKT5_llS7_PT6_ll16rocsparse_order_21rocsparse_index_base_b: ; @_ZN9rocsparseL29bsrmmnn_small_blockdim_kernelILj64ELj8ELj2Eii21rocsparse_complex_numIfES2_S2_S2_EEv20rocsparse_direction_T3_S4_llNS_24const_host_device_scalarIT7_EEPKT2_PKS4_PKT4_PKT5_llS7_PT6_ll16rocsparse_order_21rocsparse_index_base_b
; %bb.0:
	s_clause 0x2
	s_load_b128 s[16:19], s[0:1], 0x78
	s_load_b64 s[4:5], s[0:1], 0x20
	s_load_b64 s[2:3], s[0:1], 0x58
	s_waitcnt lgkmcnt(0)
	s_bitcmp1_b32 s18, 0
	v_mov_b32_e32 v14, s4
	s_cselect_b32 s6, -1, 0
	s_delay_alu instid0(SALU_CYCLE_1)
	s_and_b32 vcc_lo, exec_lo, s6
	s_xor_b32 s6, s6, -1
	s_cbranch_vccz .LBB6_31
; %bb.1:
	v_cndmask_b32_e64 v1, 0, 1, s6
	v_mov_b32_e32 v15, s5
	s_and_not1_b32 vcc_lo, exec_lo, s6
	s_cbranch_vccz .LBB6_32
.LBB6_2:
	s_delay_alu instid0(VALU_DEP_2)
	v_cmp_ne_u32_e32 vcc_lo, 1, v1
	v_mov_b32_e32 v16, s2
	s_cbranch_vccz .LBB6_33
.LBB6_3:
	v_cmp_ne_u32_e32 vcc_lo, 1, v1
	v_mov_b32_e32 v17, s3
	s_cbranch_vccnz .LBB6_5
.LBB6_4:
	v_dual_mov_b32 v1, s2 :: v_dual_mov_b32 v2, s3
	flat_load_b32 v17, v[1:2] offset:4
.LBB6_5:
	s_waitcnt vmcnt(0) lgkmcnt(0)
	v_cmp_eq_f32_e32 vcc_lo, 0, v14
	v_cmp_eq_f32_e64 s2, 0, v15
	s_delay_alu instid0(VALU_DEP_1)
	s_and_b32 s4, vcc_lo, s2
	s_mov_b32 s2, -1
	s_and_saveexec_b32 s3, s4
; %bb.6:
	v_cmp_neq_f32_e32 vcc_lo, 1.0, v16
	v_cmp_neq_f32_e64 s2, 0, v17
	s_delay_alu instid0(VALU_DEP_1) | instskip(NEXT) | instid1(SALU_CYCLE_1)
	s_or_b32 s2, vcc_lo, s2
	s_or_not1_b32 s2, s2, exec_lo
; %bb.7:
	s_or_b32 exec_lo, exec_lo, s3
	s_and_saveexec_b32 s3, s2
	s_cbranch_execz .LBB6_30
; %bb.8:
	s_clause 0x1
	s_load_b32 s3, s[0:1], 0x88
	s_load_b128 s[20:23], s[0:1], 0x0
	s_add_u32 s2, s0, 0x88
	s_addc_u32 s5, s1, 0
	v_mov_b32_e32 v1, 0
	s_waitcnt lgkmcnt(0)
	s_cmp_lt_u32 s14, s3
	s_cselect_b32 s4, 12, 18
	s_delay_alu instid0(SALU_CYCLE_1)
	s_add_u32 s4, s2, s4
	s_addc_u32 s5, s5, 0
	s_mov_b32 s2, 0
	global_load_u16 v5, v1, s[4:5]
	s_waitcnt vmcnt(0)
	v_mad_u64_u32 v[3:4], null, s14, v5, v[0:1]
	s_delay_alu instid0(VALU_DEP_1) | instskip(NEXT) | instid1(VALU_DEP_1)
	v_lshrrev_b32_e32 v2, 4, v3
	v_cmp_gt_i32_e32 vcc_lo, s21, v2
	s_and_b32 exec_lo, exec_lo, vcc_lo
	s_cbranch_execz .LBB6_30
; %bb.9:
	s_clause 0x1
	s_load_b128 s[24:27], s[0:1], 0x60
	s_load_b256 s[4:11], s[0:1], 0x28
	v_lshrrev_b32_e32 v24, 3, v3
	v_lshrrev_b32_e32 v23, 3, v0
	s_load_b64 s[12:13], s[0:1], 0x48
	v_mul_lo_u32 v5, s3, v5
	v_cmp_neq_f32_e32 vcc_lo, 0, v16
	v_cmp_neq_f32_e64 s0, 0, v17
	v_lshl_or_b32 v19, v23, 5, 0x600
	v_mul_u32_u24_e32 v20, 0xc0, v23
	v_bfe_u32 v28, v3, 3, 1
	s_delay_alu instid0(VALU_DEP_4)
	s_or_b32 s1, vcc_lo, s0
	v_lshrrev_b32_e32 v21, 4, v5
	s_cmp_lg_u32 s16, 1
	s_cselect_b32 s3, -1, 0
	s_cmp_eq_u32 s20, 0
	s_waitcnt lgkmcnt(0)
	v_mad_u64_u32 v[6:7], null, v24, s26, 0
	s_delay_alu instid0(VALU_DEP_1) | instskip(NEXT) | instid1(VALU_DEP_1)
	v_mov_b32_e32 v0, v7
	v_mad_u64_u32 v[12:13], null, v24, s27, v[0:1]
	v_and_b32_e32 v18, 7, v3
	s_delay_alu instid0(VALU_DEP_1) | instskip(NEXT) | instid1(VALU_DEP_1)
	v_mul_u32_u24_e32 v10, 3, v18
	v_lshlrev_b32_e32 v7, 3, v10
	s_delay_alu instid0(VALU_DEP_1) | instskip(SKIP_3) | instid1(VALU_DEP_3)
	v_mad_u32_u24 v23, 0xc0, v23, v7
	v_mov_b32_e32 v7, v12
	v_lshl_or_b32 v4, s15, 3, v18
	v_lshl_or_b32 v22, v18, 2, v19
	v_lshlrev_b64 v[6:7], 3, v[6:7]
	s_delay_alu instid0(VALU_DEP_3) | instskip(SKIP_3) | instid1(VALU_DEP_4)
	v_ashrrev_i32_e32 v5, 31, v4
	v_mul_lo_u32 v26, v4, s13
	v_mad_u64_u32 v[8:9], null, v4, s12, 0
	v_mul_lo_u32 v13, v4, s27
	v_mul_lo_u32 v25, v5, s12
	;; [unrolled: 1-line block ×3, first 2 shown]
	v_lshlrev_b64 v[10:11], 3, v[4:5]
	v_cmp_gt_i32_e64 s0, s22, v4
	s_delay_alu instid0(VALU_DEP_4) | instskip(SKIP_1) | instid1(VALU_DEP_4)
	v_add3_u32 v9, v9, v26, v25
	v_mad_u64_u32 v[26:27], null, v4, s26, 0
	v_add_co_u32 v10, vcc_lo, s24, v10
	s_delay_alu instid0(VALU_DEP_3) | instskip(SKIP_1) | instid1(VALU_DEP_4)
	v_lshlrev_b64 v[4:5], 3, v[8:9]
	v_add_co_ci_u32_e32 v11, vcc_lo, s25, v11, vcc_lo
	v_add3_u32 v27, v27, v13, v0
	v_and_b32_e32 v0, -8, v3
	s_delay_alu instid0(VALU_DEP_4) | instskip(SKIP_1) | instid1(VALU_DEP_4)
	v_add_co_u32 v24, vcc_lo, s10, v4
	v_add_co_ci_u32_e32 v25, vcc_lo, s11, v5, vcc_lo
	v_lshlrev_b64 v[8:9], 3, v[26:27]
	v_add_co_u32 v4, vcc_lo, v10, v6
	v_add_co_ci_u32_e32 v5, vcc_lo, v11, v7, vcc_lo
	s_cselect_b32 s10, -1, 0
	s_delay_alu instid0(VALU_DEP_3) | instskip(NEXT) | instid1(VALU_DEP_4)
	v_add_co_u32 v3, vcc_lo, s24, v8
	v_add_co_ci_u32_e32 v7, vcc_lo, s25, v9, vcc_lo
	v_cndmask_b32_e64 v8, 0, 1, s10
	s_delay_alu instid0(VALU_DEP_3) | instskip(NEXT) | instid1(VALU_DEP_3)
	v_add_co_u32 v6, vcc_lo, v3, v0
	v_add_co_ci_u32_e32 v7, vcc_lo, 0, v7, vcc_lo
	s_delay_alu instid0(VALU_DEP_3)
	v_lshlrev_b32_e32 v26, v8, v28
	v_subrev_nc_u32_e32 v27, s17, v18
	s_and_b32 s10, s10, exec_lo
	s_cselect_b32 s10, 1, 2
	s_branch .LBB6_11
.LBB6_10:                               ;   in Loop: Header=BB6_11 Depth=1
	s_or_b32 exec_lo, exec_lo, s11
	v_add_nc_u32_e32 v2, v2, v21
	s_delay_alu instid0(VALU_DEP_1) | instskip(SKIP_1) | instid1(SALU_CYCLE_1)
	v_cmp_le_i32_e32 vcc_lo, s21, v2
	s_or_b32 s2, vcc_lo, s2
	s_and_not1_b32 exec_lo, exec_lo, s2
	s_cbranch_execz .LBB6_30
.LBB6_11:                               ; =>This Loop Header: Depth=1
                                        ;     Child Loop BB6_14 Depth 2
	v_dual_mov_b32 v3, v1 :: v_dual_mov_b32 v30, 0
	s_mov_b32 s11, exec_lo
	s_delay_alu instid0(VALU_DEP_1) | instskip(SKIP_1) | instid1(VALU_DEP_2)
	v_lshlrev_b64 v[8:9], 2, v[2:3]
	v_mov_b32_e32 v3, 0
	v_add_co_u32 v8, vcc_lo, s4, v8
	s_delay_alu instid0(VALU_DEP_3)
	v_add_co_ci_u32_e32 v9, vcc_lo, s5, v9, vcc_lo
	global_load_b64 v[8:9], v[8:9], off
	s_waitcnt vmcnt(0)
	v_cmpx_lt_i32_e64 v8, v9
	s_cbranch_execz .LBB6_19
; %bb.12:                               ;   in Loop: Header=BB6_11 Depth=1
	v_dual_mov_b32 v3, 0 :: v_dual_add_nc_u32 v0, v27, v8
	v_subrev_nc_u32_e32 v28, s17, v9
	v_subrev_nc_u32_e32 v29, s17, v8
	v_mov_b32_e32 v30, 0
	s_delay_alu instid0(VALU_DEP_4)
	v_lshl_or_b32 v0, v0, 2, v26
	s_mov_b32 s12, 0
	s_branch .LBB6_14
.LBB6_13:                               ;   in Loop: Header=BB6_14 Depth=2
	s_or_b32 exec_lo, exec_lo, s13
	v_add_nc_u32_e32 v29, 8, v29
	v_add_nc_u32_e32 v0, 32, v0
	s_delay_alu instid0(VALU_DEP_2) | instskip(SKIP_1) | instid1(SALU_CYCLE_1)
	v_cmp_ge_i32_e32 vcc_lo, v29, v28
	s_or_b32 s12, vcc_lo, s12
	s_and_not1_b32 exec_lo, exec_lo, s12
	s_cbranch_execz .LBB6_18
.LBB6_14:                               ;   Parent Loop BB6_11 Depth=1
                                        ; =>  This Inner Loop Header: Depth=2
	v_dual_mov_b32 v13, 0 :: v_dual_add_nc_u32 v12, v18, v29
	v_dual_mov_b32 v8, 0 :: v_dual_mov_b32 v9, 0
	v_dual_mov_b32 v10, 0 :: v_dual_mov_b32 v11, 0
	s_mov_b32 s13, exec_lo
	s_delay_alu instid0(VALU_DEP_3)
	v_cmpx_lt_i32_e64 v12, v28
	s_cbranch_execz .LBB6_16
; %bb.15:                               ;   in Loop: Header=BB6_14 Depth=2
	v_ashrrev_i32_e32 v13, 31, v12
	v_dual_mov_b32 v11, v1 :: v_dual_add_nc_u32 v10, s10, v0
	s_delay_alu instid0(VALU_DEP_2) | instskip(SKIP_1) | instid1(VALU_DEP_3)
	v_lshlrev_b64 v[8:9], 2, v[12:13]
	v_lshlrev_b64 v[12:13], 3, v[0:1]
	;; [unrolled: 1-line block ×3, first 2 shown]
	s_delay_alu instid0(VALU_DEP_3) | instskip(NEXT) | instid1(VALU_DEP_4)
	v_add_co_u32 v8, vcc_lo, s6, v8
	v_add_co_ci_u32_e32 v9, vcc_lo, s7, v9, vcc_lo
	global_load_b32 v31, v[8:9], off
	v_add_co_u32 v8, vcc_lo, s8, v12
	v_add_co_ci_u32_e32 v9, vcc_lo, s9, v13, vcc_lo
	v_add_co_u32 v10, vcc_lo, s8, v10
	v_add_co_ci_u32_e32 v11, vcc_lo, s9, v11, vcc_lo
	s_clause 0x1
	global_load_b64 v[8:9], v[8:9], off
	global_load_b64 v[10:11], v[10:11], off
	s_waitcnt vmcnt(2)
	v_subrev_nc_u32_e32 v12, s17, v31
	s_delay_alu instid0(VALU_DEP_1)
	v_lshlrev_b32_e32 v13, 1, v12
.LBB6_16:                               ;   in Loop: Header=BB6_14 Depth=2
	s_or_b32 exec_lo, exec_lo, s13
	ds_store_b32 v22, v13
	s_waitcnt vmcnt(0)
	ds_store_2addr_b64 v23, v[8:9], v[10:11] offset1:1
	s_waitcnt lgkmcnt(0)
	s_waitcnt_vscnt null, 0x0
	s_barrier
	buffer_gl0_inv
	s_and_saveexec_b32 s13, s0
	s_cbranch_execz .LBB6_13
; %bb.17:                               ;   in Loop: Header=BB6_14 Depth=2
	ds_load_b128 v[8:11], v19
	ds_load_b128 v[31:34], v19 offset:16
	s_waitcnt lgkmcnt(1)
	v_ashrrev_i32_e32 v13, 31, v8
	v_mov_b32_e32 v12, v8
	s_delay_alu instid0(VALU_DEP_1) | instskip(NEXT) | instid1(VALU_DEP_1)
	v_lshlrev_b64 v[12:13], 3, v[12:13]
	v_add_co_u32 v12, vcc_lo, v24, v12
	s_delay_alu instid0(VALU_DEP_2) | instskip(SKIP_3) | instid1(VALU_DEP_1)
	v_add_co_ci_u32_e32 v13, vcc_lo, v25, v13, vcc_lo
	global_load_b128 v[35:38], v[12:13], off
	v_ashrrev_i32_e32 v13, 31, v9
	v_mov_b32_e32 v12, v9
	v_lshlrev_b64 v[8:9], 3, v[12:13]
	s_waitcnt lgkmcnt(0)
	v_ashrrev_i32_e32 v13, 31, v31
	s_delay_alu instid0(VALU_DEP_2) | instskip(NEXT) | instid1(VALU_DEP_3)
	v_add_co_u32 v8, vcc_lo, v24, v8
	v_add_co_ci_u32_e32 v9, vcc_lo, v25, v9, vcc_lo
	global_load_b128 v[39:42], v[8:9], off
	v_ashrrev_i32_e32 v9, 31, v10
	v_mov_b32_e32 v8, v10
	v_mov_b32_e32 v12, v31
	s_delay_alu instid0(VALU_DEP_2) | instskip(NEXT) | instid1(VALU_DEP_2)
	v_lshlrev_b64 v[8:9], 3, v[8:9]
	v_lshlrev_b64 v[12:13], 3, v[12:13]
	s_delay_alu instid0(VALU_DEP_2) | instskip(NEXT) | instid1(VALU_DEP_3)
	v_add_co_u32 v8, vcc_lo, v24, v8
	v_add_co_ci_u32_e32 v9, vcc_lo, v25, v9, vcc_lo
	global_load_b128 v[43:46], v[8:9], off
	v_ashrrev_i32_e32 v9, 31, v11
	v_mov_b32_e32 v8, v11
	s_delay_alu instid0(VALU_DEP_1) | instskip(NEXT) | instid1(VALU_DEP_1)
	v_lshlrev_b64 v[8:9], 3, v[8:9]
	v_add_co_u32 v8, vcc_lo, v24, v8
	s_delay_alu instid0(VALU_DEP_2)
	v_add_co_ci_u32_e32 v9, vcc_lo, v25, v9, vcc_lo
	v_add_co_u32 v12, vcc_lo, v24, v12
	v_add_co_ci_u32_e32 v13, vcc_lo, v25, v13, vcc_lo
	s_clause 0x1
	global_load_b128 v[8:11], v[8:9], off
	global_load_b128 v[47:50], v[12:13], off
	v_ashrrev_i32_e32 v13, 31, v32
	v_mov_b32_e32 v12, v32
	s_delay_alu instid0(VALU_DEP_1) | instskip(NEXT) | instid1(VALU_DEP_1)
	v_lshlrev_b64 v[12:13], 3, v[12:13]
	v_add_co_u32 v12, vcc_lo, v24, v12
	s_delay_alu instid0(VALU_DEP_2) | instskip(SKIP_3) | instid1(VALU_DEP_1)
	v_add_co_ci_u32_e32 v13, vcc_lo, v25, v13, vcc_lo
	global_load_b128 v[51:54], v[12:13], off
	v_ashrrev_i32_e32 v13, 31, v33
	v_mov_b32_e32 v12, v33
	v_lshlrev_b64 v[12:13], 3, v[12:13]
	s_delay_alu instid0(VALU_DEP_1) | instskip(NEXT) | instid1(VALU_DEP_2)
	v_add_co_u32 v12, vcc_lo, v24, v12
	v_add_co_ci_u32_e32 v13, vcc_lo, v25, v13, vcc_lo
	global_load_b128 v[55:58], v[12:13], off
	v_ashrrev_i32_e32 v13, 31, v34
	v_mov_b32_e32 v12, v34
	s_delay_alu instid0(VALU_DEP_1) | instskip(NEXT) | instid1(VALU_DEP_1)
	v_lshlrev_b64 v[12:13], 3, v[12:13]
	v_add_co_u32 v12, vcc_lo, v24, v12
	s_delay_alu instid0(VALU_DEP_2)
	v_add_co_ci_u32_e32 v13, vcc_lo, v25, v13, vcc_lo
	global_load_b128 v[31:34], v[12:13], off
	ds_load_b128 v[59:62], v20
	ds_load_2addr_b64 v[63:66], v20 offset0:3 offset1:4
	s_waitcnt vmcnt(7) lgkmcnt(1)
	v_fmac_f32_e32 v3, v60, v35
	v_fmac_f32_e32 v30, v59, v35
	s_delay_alu instid0(VALU_DEP_2) | instskip(NEXT) | instid1(VALU_DEP_2)
	v_fmac_f32_e32 v3, v59, v36
	v_fma_f32 v12, -v60, v36, v30
	s_delay_alu instid0(VALU_DEP_2) | instskip(NEXT) | instid1(VALU_DEP_1)
	v_fmac_f32_e32 v3, v62, v37
	v_fmac_f32_e32 v3, v61, v38
	s_waitcnt vmcnt(6) lgkmcnt(0)
	s_delay_alu instid0(VALU_DEP_1) | instskip(NEXT) | instid1(VALU_DEP_1)
	v_fmac_f32_e32 v3, v64, v39
	v_fmac_f32_e32 v3, v63, v40
	s_delay_alu instid0(VALU_DEP_1) | instskip(NEXT) | instid1(VALU_DEP_1)
	v_fmac_f32_e32 v3, v66, v41
	v_fmac_f32_e32 v3, v65, v42
	;; [unrolled: 1-line block ×3, first 2 shown]
	s_delay_alu instid0(VALU_DEP_1) | instskip(SKIP_2) | instid1(VALU_DEP_1)
	v_fma_f32 v12, -v62, v38, v12
	ds_load_b128 v[35:38], v20 offset:48
	v_fmac_f32_e32 v12, v63, v39
	v_fma_f32 v12, -v64, v40, v12
	s_delay_alu instid0(VALU_DEP_1) | instskip(NEXT) | instid1(VALU_DEP_1)
	v_fmac_f32_e32 v12, v65, v41
	v_fma_f32 v12, -v66, v42, v12
	ds_load_2addr_b64 v[39:42], v20 offset0:9 offset1:10
	s_waitcnt vmcnt(5) lgkmcnt(1)
	v_fmac_f32_e32 v3, v36, v43
	s_delay_alu instid0(VALU_DEP_1) | instskip(NEXT) | instid1(VALU_DEP_1)
	v_fmac_f32_e32 v3, v35, v44
	v_fmac_f32_e32 v3, v38, v45
	s_delay_alu instid0(VALU_DEP_1) | instskip(SKIP_1) | instid1(VALU_DEP_1)
	v_dual_fmac_f32 v3, v37, v46 :: v_dual_fmac_f32 v12, v35, v43
	s_waitcnt vmcnt(4) lgkmcnt(0)
	v_fmac_f32_e32 v3, v40, v8
	s_delay_alu instid0(VALU_DEP_2) | instskip(NEXT) | instid1(VALU_DEP_2)
	v_fma_f32 v12, -v36, v44, v12
	v_fmac_f32_e32 v3, v39, v9
	s_delay_alu instid0(VALU_DEP_1) | instskip(NEXT) | instid1(VALU_DEP_1)
	v_dual_fmac_f32 v12, v37, v45 :: v_dual_fmac_f32 v3, v42, v10
	v_fma_f32 v12, -v38, v46, v12
	ds_load_b128 v[35:38], v20 offset:96
	v_dual_fmac_f32 v3, v41, v11 :: v_dual_fmac_f32 v12, v39, v8
	s_delay_alu instid0(VALU_DEP_1) | instskip(NEXT) | instid1(VALU_DEP_1)
	v_fma_f32 v8, -v40, v9, v12
	v_fmac_f32_e32 v8, v41, v10
	s_delay_alu instid0(VALU_DEP_1) | instskip(SKIP_3) | instid1(VALU_DEP_1)
	v_fma_f32 v12, -v42, v11, v8
	ds_load_2addr_b64 v[8:11], v20 offset0:15 offset1:16
	s_waitcnt vmcnt(3) lgkmcnt(1)
	v_fmac_f32_e32 v3, v36, v47
	v_fmac_f32_e32 v3, v35, v48
	s_delay_alu instid0(VALU_DEP_1) | instskip(NEXT) | instid1(VALU_DEP_1)
	v_dual_fmac_f32 v12, v35, v47 :: v_dual_fmac_f32 v3, v38, v49
	v_fma_f32 v12, -v36, v48, v12
	s_delay_alu instid0(VALU_DEP_2) | instskip(NEXT) | instid1(VALU_DEP_2)
	v_fmac_f32_e32 v3, v37, v50
	v_fmac_f32_e32 v12, v37, v49
	s_waitcnt vmcnt(2) lgkmcnt(0)
	s_delay_alu instid0(VALU_DEP_2) | instskip(NEXT) | instid1(VALU_DEP_2)
	v_fmac_f32_e32 v3, v9, v51
	v_fma_f32 v12, -v38, v50, v12
	ds_load_b128 v[35:38], v20 offset:144
	v_fmac_f32_e32 v3, v8, v52
	s_delay_alu instid0(VALU_DEP_1) | instskip(NEXT) | instid1(VALU_DEP_1)
	v_dual_fmac_f32 v12, v8, v51 :: v_dual_fmac_f32 v3, v11, v53
	v_fma_f32 v9, -v9, v52, v12
	s_delay_alu instid0(VALU_DEP_2) | instskip(NEXT) | instid1(VALU_DEP_2)
	v_fmac_f32_e32 v3, v10, v54
	v_fmac_f32_e32 v9, v10, v53
	s_delay_alu instid0(VALU_DEP_1) | instskip(SKIP_4) | instid1(VALU_DEP_2)
	v_fma_f32 v12, -v11, v54, v9
	ds_load_2addr_b64 v[8:11], v20 offset0:21 offset1:22
	s_waitcnt vmcnt(1) lgkmcnt(1)
	v_fmac_f32_e32 v3, v36, v55
	v_fmac_f32_e32 v12, v35, v55
	;; [unrolled: 1-line block ×3, first 2 shown]
	s_delay_alu instid0(VALU_DEP_2) | instskip(NEXT) | instid1(VALU_DEP_2)
	v_fma_f32 v12, -v36, v56, v12
	v_fmac_f32_e32 v3, v38, v57
	s_delay_alu instid0(VALU_DEP_2) | instskip(NEXT) | instid1(VALU_DEP_2)
	v_fmac_f32_e32 v12, v37, v57
	v_fmac_f32_e32 v3, v37, v58
	s_delay_alu instid0(VALU_DEP_2) | instskip(SKIP_1) | instid1(VALU_DEP_2)
	v_fma_f32 v12, -v38, v58, v12
	s_waitcnt vmcnt(0) lgkmcnt(0)
	v_fmac_f32_e32 v3, v9, v31
	s_delay_alu instid0(VALU_DEP_2) | instskip(NEXT) | instid1(VALU_DEP_2)
	v_fmac_f32_e32 v12, v8, v31
	v_fmac_f32_e32 v3, v8, v32
	s_delay_alu instid0(VALU_DEP_2) | instskip(NEXT) | instid1(VALU_DEP_2)
	v_fma_f32 v9, -v9, v32, v12
	v_fmac_f32_e32 v3, v11, v33
	s_delay_alu instid0(VALU_DEP_2) | instskip(NEXT) | instid1(VALU_DEP_2)
	v_fmac_f32_e32 v9, v10, v33
	v_fmac_f32_e32 v3, v10, v34
	s_delay_alu instid0(VALU_DEP_2)
	v_fma_f32 v30, -v11, v34, v9
	s_branch .LBB6_13
.LBB6_18:                               ;   in Loop: Header=BB6_11 Depth=1
	s_or_b32 exec_lo, exec_lo, s12
.LBB6_19:                               ;   in Loop: Header=BB6_11 Depth=1
	s_delay_alu instid0(SALU_CYCLE_1)
	s_or_b32 exec_lo, exec_lo, s11
	s_and_saveexec_b32 s11, s0
	s_cbranch_execz .LBB6_10
; %bb.20:                               ;   in Loop: Header=BB6_11 Depth=1
	v_mul_f32_e64 v8, v3, -v15
	v_mul_f32_e32 v9, v3, v14
	s_delay_alu instid0(VALU_DEP_2) | instskip(NEXT) | instid1(VALU_DEP_2)
	v_fmac_f32_e32 v8, v14, v30
	v_fmac_f32_e32 v9, v15, v30
	s_and_saveexec_b32 s12, s1
	s_delay_alu instid0(SALU_CYCLE_1)
	s_xor_b32 s12, exec_lo, s12
	s_cbranch_execz .LBB6_25
; %bb.21:                               ;   in Loop: Header=BB6_11 Depth=1
	s_and_b32 vcc_lo, exec_lo, s3
	s_mov_b32 s13, -1
	s_cbranch_vccz .LBB6_23
; %bb.22:                               ;   in Loop: Header=BB6_11 Depth=1
	global_load_b64 v[10:11], v[4:5], off
	s_mov_b32 s13, 0
	s_waitcnt vmcnt(0)
	v_fma_f32 v0, v16, v10, v8
	v_fma_f32 v13, v17, v10, v9
	s_delay_alu instid0(VALU_DEP_2) | instskip(NEXT) | instid1(VALU_DEP_2)
	v_fma_f32 v12, -v17, v11, v0
	v_fmac_f32_e32 v13, v16, v11
	global_store_b64 v[4:5], v[12:13], off
.LBB6_23:                               ;   in Loop: Header=BB6_11 Depth=1
	s_and_not1_b32 vcc_lo, exec_lo, s13
	s_cbranch_vccnz .LBB6_25
; %bb.24:                               ;   in Loop: Header=BB6_11 Depth=1
	global_load_b64 v[10:11], v[6:7], off
	s_waitcnt vmcnt(0)
	v_fmac_f32_e32 v8, v16, v10
	v_fmac_f32_e32 v9, v17, v10
	s_delay_alu instid0(VALU_DEP_2) | instskip(NEXT) | instid1(VALU_DEP_2)
	v_fma_f32 v8, -v17, v11, v8
	v_fmac_f32_e32 v9, v16, v11
	global_store_b64 v[6:7], v[8:9], off
                                        ; implicit-def: $vgpr8
.LBB6_25:                               ;   in Loop: Header=BB6_11 Depth=1
	s_and_not1_saveexec_b32 s12, s12
	s_cbranch_execz .LBB6_10
; %bb.26:                               ;   in Loop: Header=BB6_11 Depth=1
	s_and_b32 vcc_lo, exec_lo, s3
	s_mov_b32 s12, -1
	s_cbranch_vccz .LBB6_28
; %bb.27:                               ;   in Loop: Header=BB6_11 Depth=1
	s_mov_b32 s12, 0
	global_store_b64 v[4:5], v[8:9], off
.LBB6_28:                               ;   in Loop: Header=BB6_11 Depth=1
	s_and_not1_b32 vcc_lo, exec_lo, s12
	s_cbranch_vccnz .LBB6_10
; %bb.29:                               ;   in Loop: Header=BB6_11 Depth=1
	global_store_b64 v[6:7], v[8:9], off
	s_branch .LBB6_10
.LBB6_30:
	s_nop 0
	s_sendmsg sendmsg(MSG_DEALLOC_VGPRS)
	s_endpgm
.LBB6_31:
	v_dual_mov_b32 v1, s4 :: v_dual_mov_b32 v2, s5
	flat_load_b32 v14, v[1:2]
	v_cndmask_b32_e64 v1, 0, 1, s6
	v_mov_b32_e32 v15, s5
	s_and_not1_b32 vcc_lo, exec_lo, s6
	s_cbranch_vccnz .LBB6_2
.LBB6_32:
	v_dual_mov_b32 v2, s4 :: v_dual_mov_b32 v3, s5
	flat_load_b32 v15, v[2:3] offset:4
	v_cmp_ne_u32_e32 vcc_lo, 1, v1
	v_mov_b32_e32 v16, s2
	s_cbranch_vccnz .LBB6_3
.LBB6_33:
	v_dual_mov_b32 v2, s2 :: v_dual_mov_b32 v3, s3
	flat_load_b32 v16, v[2:3]
	v_cmp_ne_u32_e32 vcc_lo, 1, v1
	v_mov_b32_e32 v17, s3
	s_cbranch_vccz .LBB6_4
	s_branch .LBB6_5
	.section	.rodata,"a",@progbits
	.p2align	6, 0x0
	.amdhsa_kernel _ZN9rocsparseL29bsrmmnn_small_blockdim_kernelILj64ELj8ELj2Eii21rocsparse_complex_numIfES2_S2_S2_EEv20rocsparse_direction_T3_S4_llNS_24const_host_device_scalarIT7_EEPKT2_PKS4_PKT4_PKT5_llS7_PT6_ll16rocsparse_order_21rocsparse_index_base_b
		.amdhsa_group_segment_fixed_size 1792
		.amdhsa_private_segment_fixed_size 0
		.amdhsa_kernarg_size 392
		.amdhsa_user_sgpr_count 14
		.amdhsa_user_sgpr_dispatch_ptr 0
		.amdhsa_user_sgpr_queue_ptr 0
		.amdhsa_user_sgpr_kernarg_segment_ptr 1
		.amdhsa_user_sgpr_dispatch_id 0
		.amdhsa_user_sgpr_private_segment_size 0
		.amdhsa_wavefront_size32 1
		.amdhsa_uses_dynamic_stack 0
		.amdhsa_enable_private_segment 0
		.amdhsa_system_sgpr_workgroup_id_x 1
		.amdhsa_system_sgpr_workgroup_id_y 1
		.amdhsa_system_sgpr_workgroup_id_z 0
		.amdhsa_system_sgpr_workgroup_info 0
		.amdhsa_system_vgpr_workitem_id 0
		.amdhsa_next_free_vgpr 67
		.amdhsa_next_free_sgpr 28
		.amdhsa_reserve_vcc 1
		.amdhsa_float_round_mode_32 0
		.amdhsa_float_round_mode_16_64 0
		.amdhsa_float_denorm_mode_32 3
		.amdhsa_float_denorm_mode_16_64 3
		.amdhsa_dx10_clamp 1
		.amdhsa_ieee_mode 1
		.amdhsa_fp16_overflow 0
		.amdhsa_workgroup_processor_mode 1
		.amdhsa_memory_ordered 1
		.amdhsa_forward_progress 0
		.amdhsa_shared_vgpr_count 0
		.amdhsa_exception_fp_ieee_invalid_op 0
		.amdhsa_exception_fp_denorm_src 0
		.amdhsa_exception_fp_ieee_div_zero 0
		.amdhsa_exception_fp_ieee_overflow 0
		.amdhsa_exception_fp_ieee_underflow 0
		.amdhsa_exception_fp_ieee_inexact 0
		.amdhsa_exception_int_div_zero 0
	.end_amdhsa_kernel
	.section	.text._ZN9rocsparseL29bsrmmnn_small_blockdim_kernelILj64ELj8ELj2Eii21rocsparse_complex_numIfES2_S2_S2_EEv20rocsparse_direction_T3_S4_llNS_24const_host_device_scalarIT7_EEPKT2_PKS4_PKT4_PKT5_llS7_PT6_ll16rocsparse_order_21rocsparse_index_base_b,"axG",@progbits,_ZN9rocsparseL29bsrmmnn_small_blockdim_kernelILj64ELj8ELj2Eii21rocsparse_complex_numIfES2_S2_S2_EEv20rocsparse_direction_T3_S4_llNS_24const_host_device_scalarIT7_EEPKT2_PKS4_PKT4_PKT5_llS7_PT6_ll16rocsparse_order_21rocsparse_index_base_b,comdat
.Lfunc_end6:
	.size	_ZN9rocsparseL29bsrmmnn_small_blockdim_kernelILj64ELj8ELj2Eii21rocsparse_complex_numIfES2_S2_S2_EEv20rocsparse_direction_T3_S4_llNS_24const_host_device_scalarIT7_EEPKT2_PKS4_PKT4_PKT5_llS7_PT6_ll16rocsparse_order_21rocsparse_index_base_b, .Lfunc_end6-_ZN9rocsparseL29bsrmmnn_small_blockdim_kernelILj64ELj8ELj2Eii21rocsparse_complex_numIfES2_S2_S2_EEv20rocsparse_direction_T3_S4_llNS_24const_host_device_scalarIT7_EEPKT2_PKS4_PKT4_PKT5_llS7_PT6_ll16rocsparse_order_21rocsparse_index_base_b
                                        ; -- End function
	.section	.AMDGPU.csdata,"",@progbits
; Kernel info:
; codeLenInByte = 2328
; NumSgprs: 30
; NumVgprs: 67
; ScratchSize: 0
; MemoryBound: 0
; FloatMode: 240
; IeeeMode: 1
; LDSByteSize: 1792 bytes/workgroup (compile time only)
; SGPRBlocks: 3
; VGPRBlocks: 8
; NumSGPRsForWavesPerEU: 30
; NumVGPRsForWavesPerEU: 67
; Occupancy: 16
; WaveLimiterHint : 1
; COMPUTE_PGM_RSRC2:SCRATCH_EN: 0
; COMPUTE_PGM_RSRC2:USER_SGPR: 14
; COMPUTE_PGM_RSRC2:TRAP_HANDLER: 0
; COMPUTE_PGM_RSRC2:TGID_X_EN: 1
; COMPUTE_PGM_RSRC2:TGID_Y_EN: 1
; COMPUTE_PGM_RSRC2:TGID_Z_EN: 0
; COMPUTE_PGM_RSRC2:TIDIG_COMP_CNT: 0
	.section	.text._ZN9rocsparseL29bsrmmnn_small_blockdim_kernelILj64ELj8ELj2Eli21rocsparse_complex_numIfES2_S2_S2_EEv20rocsparse_direction_T3_S4_llNS_24const_host_device_scalarIT7_EEPKT2_PKS4_PKT4_PKT5_llS7_PT6_ll16rocsparse_order_21rocsparse_index_base_b,"axG",@progbits,_ZN9rocsparseL29bsrmmnn_small_blockdim_kernelILj64ELj8ELj2Eli21rocsparse_complex_numIfES2_S2_S2_EEv20rocsparse_direction_T3_S4_llNS_24const_host_device_scalarIT7_EEPKT2_PKS4_PKT4_PKT5_llS7_PT6_ll16rocsparse_order_21rocsparse_index_base_b,comdat
	.globl	_ZN9rocsparseL29bsrmmnn_small_blockdim_kernelILj64ELj8ELj2Eli21rocsparse_complex_numIfES2_S2_S2_EEv20rocsparse_direction_T3_S4_llNS_24const_host_device_scalarIT7_EEPKT2_PKS4_PKT4_PKT5_llS7_PT6_ll16rocsparse_order_21rocsparse_index_base_b ; -- Begin function _ZN9rocsparseL29bsrmmnn_small_blockdim_kernelILj64ELj8ELj2Eli21rocsparse_complex_numIfES2_S2_S2_EEv20rocsparse_direction_T3_S4_llNS_24const_host_device_scalarIT7_EEPKT2_PKS4_PKT4_PKT5_llS7_PT6_ll16rocsparse_order_21rocsparse_index_base_b
	.p2align	8
	.type	_ZN9rocsparseL29bsrmmnn_small_blockdim_kernelILj64ELj8ELj2Eli21rocsparse_complex_numIfES2_S2_S2_EEv20rocsparse_direction_T3_S4_llNS_24const_host_device_scalarIT7_EEPKT2_PKS4_PKT4_PKT5_llS7_PT6_ll16rocsparse_order_21rocsparse_index_base_b,@function
_ZN9rocsparseL29bsrmmnn_small_blockdim_kernelILj64ELj8ELj2Eli21rocsparse_complex_numIfES2_S2_S2_EEv20rocsparse_direction_T3_S4_llNS_24const_host_device_scalarIT7_EEPKT2_PKS4_PKT4_PKT5_llS7_PT6_ll16rocsparse_order_21rocsparse_index_base_b: ; @_ZN9rocsparseL29bsrmmnn_small_blockdim_kernelILj64ELj8ELj2Eli21rocsparse_complex_numIfES2_S2_S2_EEv20rocsparse_direction_T3_S4_llNS_24const_host_device_scalarIT7_EEPKT2_PKS4_PKT4_PKT5_llS7_PT6_ll16rocsparse_order_21rocsparse_index_base_b
; %bb.0:
	s_clause 0x2
	s_load_b128 s[16:19], s[0:1], 0x78
	s_load_b64 s[4:5], s[0:1], 0x20
	s_load_b64 s[2:3], s[0:1], 0x58
	s_waitcnt lgkmcnt(0)
	s_bitcmp1_b32 s18, 0
	v_mov_b32_e32 v20, s4
	s_cselect_b32 s6, -1, 0
	s_delay_alu instid0(SALU_CYCLE_1)
	s_and_b32 vcc_lo, exec_lo, s6
	s_xor_b32 s6, s6, -1
	s_cbranch_vccz .LBB7_33
; %bb.1:
	v_cndmask_b32_e64 v1, 0, 1, s6
	v_mov_b32_e32 v21, s5
	s_and_not1_b32 vcc_lo, exec_lo, s6
	s_cbranch_vccz .LBB7_34
.LBB7_2:
	s_delay_alu instid0(VALU_DEP_2)
	v_cmp_ne_u32_e32 vcc_lo, 1, v1
	v_mov_b32_e32 v22, s2
	s_cbranch_vccz .LBB7_35
.LBB7_3:
	v_cmp_ne_u32_e32 vcc_lo, 1, v1
	v_mov_b32_e32 v23, s3
	s_cbranch_vccnz .LBB7_5
.LBB7_4:
	v_dual_mov_b32 v1, s2 :: v_dual_mov_b32 v2, s3
	flat_load_b32 v23, v[1:2] offset:4
.LBB7_5:
	s_waitcnt vmcnt(0) lgkmcnt(0)
	v_cmp_eq_f32_e32 vcc_lo, 0, v20
	v_cmp_eq_f32_e64 s2, 0, v21
	s_delay_alu instid0(VALU_DEP_1)
	s_and_b32 s4, vcc_lo, s2
	s_mov_b32 s2, -1
	s_and_saveexec_b32 s3, s4
; %bb.6:
	v_cmp_neq_f32_e32 vcc_lo, 1.0, v22
	v_cmp_neq_f32_e64 s2, 0, v23
	s_delay_alu instid0(VALU_DEP_1) | instskip(NEXT) | instid1(SALU_CYCLE_1)
	s_or_b32 s2, vcc_lo, s2
	s_or_not1_b32 s2, s2, exec_lo
; %bb.7:
	s_or_b32 exec_lo, exec_lo, s3
	s_and_saveexec_b32 s3, s2
	s_cbranch_execz .LBB7_32
; %bb.8:
	s_clause 0x1
	s_load_b32 s3, s[0:1], 0x88
	s_load_b128 s[20:23], s[0:1], 0x0
	s_add_u32 s2, s0, 0x88
	s_addc_u32 s5, s1, 0
	v_mov_b32_e32 v5, 0
	s_waitcnt lgkmcnt(0)
	s_cmp_lt_u32 s14, s3
	s_cselect_b32 s4, 12, 18
	s_delay_alu instid0(SALU_CYCLE_1)
	s_add_u32 s4, s2, s4
	s_addc_u32 s5, s5, 0
	s_mov_b32 s2, 0
	global_load_u16 v3, v5, s[4:5]
	s_waitcnt vmcnt(0)
	v_mad_u64_u32 v[1:2], null, s14, v3, v[0:1]
	s_delay_alu instid0(VALU_DEP_1) | instskip(NEXT) | instid1(VALU_DEP_1)
	v_lshrrev_b32_e32 v4, 4, v1
	v_cmp_gt_i32_e32 vcc_lo, s21, v4
	s_and_b32 exec_lo, exec_lo, vcc_lo
	s_cbranch_execz .LBB7_32
; %bb.9:
	s_clause 0x1
	s_load_b128 s[24:27], s[0:1], 0x60
	s_load_b256 s[4:11], s[0:1], 0x28
	v_lshrrev_b32_e32 v14, 3, v1
	v_lshrrev_b32_e32 v15, 3, v0
	s_load_b64 s[18:19], s[0:1], 0x48
	v_mul_lo_u32 v3, s3, v3
	v_cmp_neq_f32_e32 vcc_lo, 0, v22
	v_cmp_neq_f32_e64 s0, 0, v23
	v_bfe_u32 v16, v1, 3, 1
	v_lshl_or_b32 v25, v15, 5, 0x600
	v_mul_u32_u24_e32 v26, 0xc0, v15
	s_delay_alu instid0(VALU_DEP_4)
	s_or_b32 s3, vcc_lo, s0
	v_lshrrev_b32_e32 v27, 4, v3
	s_cmp_lg_u32 s16, 1
	s_cselect_b32 s12, -1, 0
	s_cmp_eq_u32 s20, 0
	s_cselect_b32 s1, -1, 0
	s_waitcnt lgkmcnt(0)
	v_mad_u64_u32 v[6:7], null, v14, s26, 0
	s_delay_alu instid0(VALU_DEP_1) | instskip(NEXT) | instid1(VALU_DEP_1)
	v_mov_b32_e32 v0, v7
	v_mad_u64_u32 v[12:13], null, v14, s27, v[0:1]
	v_and_b32_e32 v24, 7, v1
	s_delay_alu instid0(VALU_DEP_1) | instskip(NEXT) | instid1(VALU_DEP_1)
	v_mul_u32_u24_e32 v10, 3, v24
	v_lshlrev_b32_e32 v7, 3, v10
	s_delay_alu instid0(VALU_DEP_1) | instskip(SKIP_3) | instid1(VALU_DEP_3)
	v_mad_u32_u24 v29, 0xc0, v15, v7
	v_mov_b32_e32 v7, v12
	v_lshl_or_b32 v2, s15, 3, v24
	v_lshl_or_b32 v28, v24, 2, v25
	v_lshlrev_b64 v[6:7], 3, v[6:7]
	s_delay_alu instid0(VALU_DEP_3) | instskip(SKIP_3) | instid1(VALU_DEP_4)
	v_ashrrev_i32_e32 v3, 31, v2
	v_mul_lo_u32 v18, v2, s19
	v_mad_u64_u32 v[8:9], null, v2, s18, 0
	v_mad_u64_u32 v[13:14], null, v2, s26, 0
	v_mul_lo_u32 v17, v3, s18
	v_mul_lo_u32 v0, v3, s26
	v_lshlrev_b64 v[10:11], 3, v[2:3]
	v_cmp_gt_i32_e64 s0, s22, v2
	s_delay_alu instid0(VALU_DEP_4) | instskip(SKIP_1) | instid1(VALU_DEP_2)
	v_add3_u32 v9, v9, v18, v17
	v_mul_lo_u32 v17, v2, s27
	v_lshlrev_b64 v[2:3], 3, v[8:9]
	v_add_co_u32 v8, vcc_lo, s24, v10
	v_add_co_ci_u32_e32 v9, vcc_lo, s25, v11, vcc_lo
	s_delay_alu instid0(VALU_DEP_4) | instskip(NEXT) | instid1(VALU_DEP_4)
	v_add3_u32 v14, v14, v17, v0
	v_add_co_u32 v30, vcc_lo, s10, v2
	v_add_co_ci_u32_e32 v31, vcc_lo, s11, v3, vcc_lo
	s_delay_alu instid0(VALU_DEP_3)
	v_lshlrev_b64 v[2:3], 3, v[13:14]
	v_and_b32_e32 v0, -8, v1
	v_cndmask_b32_e64 v1, 0, 1, s1
	v_add_co_u32 v6, vcc_lo, v8, v6
	v_add_co_ci_u32_e32 v7, vcc_lo, v9, v7, vcc_lo
	v_add_co_u32 v2, vcc_lo, s24, v2
	s_delay_alu instid0(VALU_DEP_4) | instskip(SKIP_1) | instid1(VALU_DEP_3)
	v_lshlrev_b32_e32 v1, v1, v16
	v_add_co_ci_u32_e32 v3, vcc_lo, s25, v3, vcc_lo
	v_add_co_u32 v8, vcc_lo, v2, v0
	s_delay_alu instid0(VALU_DEP_3)
	v_lshlrev_b32_e32 v0, 3, v1
	s_and_b32 s1, s1, exec_lo
	s_cselect_b32 s1, 1, 2
	s_add_u32 s8, s8, 4
	s_addc_u32 s9, s9, 0
	v_add_co_u32 v32, s10, s8, v0
	s_delay_alu instid0(VALU_DEP_1)
	v_add_co_ci_u32_e64 v33, null, s9, 0, s10
	v_sub_co_u32 v34, s10, v24, s17
	v_add_co_u32 v36, s1, s1, v1
	v_add_co_ci_u32_e32 v9, vcc_lo, 0, v3, vcc_lo
	v_sub_co_ci_u32_e64 v35, null, 0, 0, s10
	v_add_co_ci_u32_e64 v37, null, 0, 0, s1
	s_mov_b32 s10, s17
	s_branch .LBB7_11
.LBB7_10:                               ;   in Loop: Header=BB7_11 Depth=1
	s_or_b32 exec_lo, exec_lo, s1
	v_add_nc_u32_e32 v4, v4, v27
	s_delay_alu instid0(VALU_DEP_1) | instskip(SKIP_1) | instid1(SALU_CYCLE_1)
	v_cmp_le_i32_e32 vcc_lo, s21, v4
	s_or_b32 s2, vcc_lo, s2
	s_and_not1_b32 exec_lo, exec_lo, s2
	s_cbranch_execz .LBB7_32
.LBB7_11:                               ; =>This Loop Header: Depth=1
                                        ;     Child Loop BB7_14 Depth 2
	v_lshlrev_b64 v[0:1], 3, v[4:5]
	v_dual_mov_b32 v38, 0 :: v_dual_mov_b32 v39, 0
	s_mov_b32 s11, exec_lo
	s_delay_alu instid0(VALU_DEP_2) | instskip(NEXT) | instid1(VALU_DEP_3)
	v_add_co_u32 v0, vcc_lo, s4, v0
	v_add_co_ci_u32_e32 v1, vcc_lo, s5, v1, vcc_lo
	global_load_b128 v[0:3], v[0:1], off
	s_waitcnt vmcnt(0)
	v_cmpx_lt_i64_e64 v[0:1], v[2:3]
	s_cbranch_execz .LBB7_21
; %bb.12:                               ;   in Loop: Header=BB7_11 Depth=1
	v_add_co_u32 v10, vcc_lo, v34, v0
	v_add_co_ci_u32_e32 v11, vcc_lo, v35, v1, vcc_lo
	v_sub_co_u32 v2, vcc_lo, v2, s10
	v_subrev_co_ci_u32_e32 v3, vcc_lo, 0, v3, vcc_lo
	s_delay_alu instid0(VALU_DEP_3) | instskip(SKIP_3) | instid1(VALU_DEP_4)
	v_lshlrev_b64 v[12:13], 2, v[10:11]
	v_sub_co_u32 v0, vcc_lo, v0, s10
	v_subrev_co_ci_u32_e32 v1, vcc_lo, 0, v1, vcc_lo
	v_lshlrev_b64 v[10:11], 5, v[10:11]
	v_add_co_u32 v14, vcc_lo, v36, v12
	v_add_co_ci_u32_e32 v15, vcc_lo, v37, v13, vcc_lo
	v_dual_mov_b32 v38, 0 :: v_dual_mov_b32 v39, 0
	s_delay_alu instid0(VALU_DEP_4) | instskip(NEXT) | instid1(VALU_DEP_3)
	v_add_co_u32 v10, vcc_lo, v32, v10
	v_lshlrev_b64 v[14:15], 3, v[14:15]
	v_add_co_ci_u32_e32 v11, vcc_lo, v33, v11, vcc_lo
	v_add_co_u32 v12, vcc_lo, s6, v12
	v_add_co_ci_u32_e32 v13, vcc_lo, s7, v13, vcc_lo
	s_delay_alu instid0(VALU_DEP_4)
	v_add_co_u32 v14, vcc_lo, s8, v14
	v_add_co_ci_u32_e32 v15, vcc_lo, s9, v15, vcc_lo
	s_mov_b32 s13, 0
	s_branch .LBB7_14
.LBB7_13:                               ;   in Loop: Header=BB7_14 Depth=2
	s_or_b32 exec_lo, exec_lo, s1
	v_add_co_u32 v0, vcc_lo, v0, 8
	v_add_co_ci_u32_e32 v1, vcc_lo, 0, v1, vcc_lo
	v_add_co_u32 v10, vcc_lo, 0x100, v10
	v_add_co_ci_u32_e32 v11, vcc_lo, 0, v11, vcc_lo
	;; [unrolled: 2-line block ×3, first 2 shown]
	v_cmp_ge_i64_e32 vcc_lo, v[0:1], v[2:3]
	v_add_co_u32 v14, s1, 0x100, v14
	s_delay_alu instid0(VALU_DEP_1) | instskip(SKIP_1) | instid1(SALU_CYCLE_1)
	v_add_co_ci_u32_e64 v15, s1, 0, v15, s1
	s_or_b32 s13, vcc_lo, s13
	s_and_not1_b32 exec_lo, exec_lo, s13
	s_cbranch_execz .LBB7_20
.LBB7_14:                               ;   Parent Loop BB7_11 Depth=1
                                        ; =>  This Inner Loop Header: Depth=2
	v_add_co_u32 v16, vcc_lo, v24, v0
	v_add_co_ci_u32_e32 v17, vcc_lo, 0, v1, vcc_lo
	s_mov_b32 s1, exec_lo
                                        ; implicit-def: $sgpr14
	s_delay_alu instid0(VALU_DEP_1)
	v_cmpx_ge_i64_e64 v[16:17], v[2:3]
	s_xor_b32 s1, exec_lo, s1
	s_cbranch_execz .LBB7_16
; %bb.15:                               ;   in Loop: Header=BB7_14 Depth=2
	s_mov_b32 s14, 0
	ds_store_b32 v28, v5
.LBB7_16:                               ;   in Loop: Header=BB7_14 Depth=2
	s_or_saveexec_b32 s1, s1
	v_dual_mov_b32 v16, s14 :: v_dual_mov_b32 v17, s14
	v_dual_mov_b32 v18, s14 :: v_dual_mov_b32 v19, s14
	s_xor_b32 exec_lo, exec_lo, s1
	s_cbranch_execz .LBB7_18
; %bb.17:                               ;   in Loop: Header=BB7_14 Depth=2
	global_load_b32 v40, v[12:13], off
	global_load_b64 v[16:17], v[10:11], off offset:-4
	global_load_b64 v[18:19], v[14:15], off offset:-4
	s_waitcnt vmcnt(2)
	v_subrev_nc_u32_e32 v40, s17, v40
	s_delay_alu instid0(VALU_DEP_1)
	v_lshlrev_b32_e32 v40, 1, v40
	ds_store_b32 v28, v40
.LBB7_18:                               ;   in Loop: Header=BB7_14 Depth=2
	s_or_b32 exec_lo, exec_lo, s1
	s_waitcnt vmcnt(0)
	ds_store_2addr_b64 v29, v[16:17], v[18:19] offset1:1
	s_waitcnt lgkmcnt(0)
	s_waitcnt_vscnt null, 0x0
	s_barrier
	buffer_gl0_inv
	s_and_saveexec_b32 s1, s0
	s_cbranch_execz .LBB7_13
; %bb.19:                               ;   in Loop: Header=BB7_14 Depth=2
	ds_load_b128 v[16:19], v25
	ds_load_b128 v[40:43], v25 offset:16
	s_waitcnt lgkmcnt(1)
	v_ashrrev_i32_e32 v45, 31, v16
	v_mov_b32_e32 v44, v16
	v_ashrrev_i32_e32 v49, 31, v17
	s_waitcnt lgkmcnt(0)
	v_ashrrev_i32_e32 v57, 31, v40
	v_ashrrev_i32_e32 v61, 31, v41
	v_lshlrev_b64 v[44:45], 3, v[44:45]
	s_delay_alu instid0(VALU_DEP_1) | instskip(NEXT) | instid1(VALU_DEP_2)
	v_add_co_u32 v44, vcc_lo, v30, v44
	v_add_co_ci_u32_e32 v45, vcc_lo, v31, v45, vcc_lo
	global_load_b128 v[44:47], v[44:45], off
	v_mov_b32_e32 v48, v17
	s_delay_alu instid0(VALU_DEP_1) | instskip(NEXT) | instid1(VALU_DEP_1)
	v_lshlrev_b64 v[16:17], 3, v[48:49]
	v_add_co_u32 v16, vcc_lo, v30, v16
	s_delay_alu instid0(VALU_DEP_2) | instskip(SKIP_3) | instid1(VALU_DEP_1)
	v_add_co_ci_u32_e32 v17, vcc_lo, v31, v17, vcc_lo
	global_load_b128 v[48:51], v[16:17], off
	v_ashrrev_i32_e32 v17, 31, v18
	v_mov_b32_e32 v16, v18
	v_lshlrev_b64 v[16:17], 3, v[16:17]
	s_delay_alu instid0(VALU_DEP_1) | instskip(NEXT) | instid1(VALU_DEP_2)
	v_add_co_u32 v16, vcc_lo, v30, v16
	v_add_co_ci_u32_e32 v17, vcc_lo, v31, v17, vcc_lo
	global_load_b128 v[52:55], v[16:17], off
	v_ashrrev_i32_e32 v17, 31, v19
	v_mov_b32_e32 v16, v19
	v_mov_b32_e32 v56, v40
	;; [unrolled: 1-line block ×3, first 2 shown]
	s_delay_alu instid0(VALU_DEP_3) | instskip(NEXT) | instid1(VALU_DEP_3)
	v_lshlrev_b64 v[16:17], 3, v[16:17]
	v_lshlrev_b64 v[56:57], 3, v[56:57]
	s_delay_alu instid0(VALU_DEP_3) | instskip(NEXT) | instid1(VALU_DEP_3)
	v_lshlrev_b64 v[40:41], 3, v[60:61]
	v_add_co_u32 v16, vcc_lo, v30, v16
	s_delay_alu instid0(VALU_DEP_4) | instskip(NEXT) | instid1(VALU_DEP_4)
	v_add_co_ci_u32_e32 v17, vcc_lo, v31, v17, vcc_lo
	v_add_co_u32 v56, vcc_lo, v30, v56
	v_add_co_ci_u32_e32 v57, vcc_lo, v31, v57, vcc_lo
	global_load_b128 v[16:19], v[16:17], off
	v_add_co_u32 v40, vcc_lo, v30, v40
	global_load_b128 v[56:59], v[56:57], off
	v_add_co_ci_u32_e32 v41, vcc_lo, v31, v41, vcc_lo
	global_load_b128 v[60:63], v[40:41], off
	v_ashrrev_i32_e32 v41, 31, v42
	v_mov_b32_e32 v40, v42
	s_delay_alu instid0(VALU_DEP_1) | instskip(NEXT) | instid1(VALU_DEP_1)
	v_lshlrev_b64 v[40:41], 3, v[40:41]
	v_add_co_u32 v40, vcc_lo, v30, v40
	s_delay_alu instid0(VALU_DEP_2) | instskip(SKIP_3) | instid1(VALU_DEP_1)
	v_add_co_ci_u32_e32 v41, vcc_lo, v31, v41, vcc_lo
	global_load_b128 v[64:67], v[40:41], off
	v_ashrrev_i32_e32 v41, 31, v43
	v_mov_b32_e32 v40, v43
	v_lshlrev_b64 v[40:41], 3, v[40:41]
	s_delay_alu instid0(VALU_DEP_1) | instskip(NEXT) | instid1(VALU_DEP_2)
	v_add_co_u32 v40, vcc_lo, v30, v40
	v_add_co_ci_u32_e32 v41, vcc_lo, v31, v41, vcc_lo
	global_load_b128 v[40:43], v[40:41], off
	ds_load_b128 v[68:71], v26
	ds_load_2addr_b64 v[72:75], v26 offset0:3 offset1:4
	s_waitcnt vmcnt(7) lgkmcnt(1)
	v_fmac_f32_e32 v39, v68, v44
	v_fmac_f32_e32 v38, v69, v44
	s_delay_alu instid0(VALU_DEP_2) | instskip(NEXT) | instid1(VALU_DEP_1)
	v_fma_f32 v39, -v69, v45, v39
	v_dual_fmac_f32 v38, v68, v45 :: v_dual_fmac_f32 v39, v70, v46
	s_delay_alu instid0(VALU_DEP_1) | instskip(NEXT) | instid1(VALU_DEP_2)
	v_fmac_f32_e32 v38, v71, v46
	v_fma_f32 v39, -v71, v47, v39
	s_delay_alu instid0(VALU_DEP_2) | instskip(SKIP_4) | instid1(VALU_DEP_2)
	v_fmac_f32_e32 v38, v70, v47
	ds_load_b128 v[44:47], v26 offset:48
	s_waitcnt vmcnt(6) lgkmcnt(1)
	v_fmac_f32_e32 v39, v72, v48
	v_fmac_f32_e32 v38, v73, v48
	v_fma_f32 v39, -v73, v49, v39
	s_delay_alu instid0(VALU_DEP_1) | instskip(NEXT) | instid1(VALU_DEP_1)
	v_dual_fmac_f32 v38, v72, v49 :: v_dual_fmac_f32 v39, v74, v50
	v_fmac_f32_e32 v38, v75, v50
	s_delay_alu instid0(VALU_DEP_2) | instskip(NEXT) | instid1(VALU_DEP_2)
	v_fma_f32 v39, -v75, v51, v39
	v_fmac_f32_e32 v38, v74, v51
	ds_load_2addr_b64 v[48:51], v26 offset0:9 offset1:10
	s_waitcnt vmcnt(5) lgkmcnt(1)
	v_fmac_f32_e32 v39, v44, v52
	v_fmac_f32_e32 v38, v45, v52
	s_delay_alu instid0(VALU_DEP_2) | instskip(NEXT) | instid1(VALU_DEP_1)
	v_fma_f32 v39, -v45, v53, v39
	v_dual_fmac_f32 v38, v44, v53 :: v_dual_fmac_f32 v39, v46, v54
	s_delay_alu instid0(VALU_DEP_1) | instskip(NEXT) | instid1(VALU_DEP_2)
	v_fmac_f32_e32 v38, v47, v54
	v_fma_f32 v39, -v47, v55, v39
	s_delay_alu instid0(VALU_DEP_2) | instskip(SKIP_4) | instid1(VALU_DEP_2)
	v_fmac_f32_e32 v38, v46, v55
	ds_load_b128 v[44:47], v26 offset:96
	s_waitcnt vmcnt(4) lgkmcnt(1)
	v_fmac_f32_e32 v39, v48, v16
	v_fmac_f32_e32 v38, v49, v16
	v_fma_f32 v16, -v49, v17, v39
	s_delay_alu instid0(VALU_DEP_2) | instskip(NEXT) | instid1(VALU_DEP_2)
	v_fmac_f32_e32 v38, v48, v17
	v_fmac_f32_e32 v16, v50, v18
	s_delay_alu instid0(VALU_DEP_2) | instskip(NEXT) | instid1(VALU_DEP_2)
	v_fmac_f32_e32 v38, v51, v18
	v_fma_f32 v39, -v51, v19, v16
	s_delay_alu instid0(VALU_DEP_2) | instskip(SKIP_4) | instid1(VALU_DEP_2)
	v_fmac_f32_e32 v38, v50, v19
	ds_load_2addr_b64 v[16:19], v26 offset0:15 offset1:16
	s_waitcnt vmcnt(3) lgkmcnt(1)
	v_fmac_f32_e32 v39, v44, v56
	v_fmac_f32_e32 v38, v45, v56
	v_fma_f32 v39, -v45, v57, v39
	s_delay_alu instid0(VALU_DEP_1) | instskip(NEXT) | instid1(VALU_DEP_1)
	v_dual_fmac_f32 v38, v44, v57 :: v_dual_fmac_f32 v39, v46, v58
	v_fmac_f32_e32 v38, v47, v58
	s_delay_alu instid0(VALU_DEP_2) | instskip(NEXT) | instid1(VALU_DEP_2)
	v_fma_f32 v39, -v47, v59, v39
	v_fmac_f32_e32 v38, v46, v59
	ds_load_b128 v[44:47], v26 offset:144
	s_waitcnt vmcnt(2) lgkmcnt(1)
	v_fmac_f32_e32 v39, v16, v60
	v_fmac_f32_e32 v38, v17, v60
	s_delay_alu instid0(VALU_DEP_2) | instskip(NEXT) | instid1(VALU_DEP_1)
	v_fma_f32 v17, -v17, v61, v39
	v_dual_fmac_f32 v38, v16, v61 :: v_dual_fmac_f32 v17, v18, v62
	s_delay_alu instid0(VALU_DEP_1) | instskip(NEXT) | instid1(VALU_DEP_2)
	v_fmac_f32_e32 v38, v19, v62
	v_fma_f32 v39, -v19, v63, v17
	s_delay_alu instid0(VALU_DEP_2) | instskip(SKIP_4) | instid1(VALU_DEP_2)
	v_fmac_f32_e32 v38, v18, v63
	ds_load_2addr_b64 v[16:19], v26 offset0:21 offset1:22
	s_waitcnt vmcnt(1) lgkmcnt(1)
	v_fmac_f32_e32 v39, v44, v64
	v_fmac_f32_e32 v38, v45, v64
	v_fma_f32 v39, -v45, v65, v39
	s_delay_alu instid0(VALU_DEP_1) | instskip(NEXT) | instid1(VALU_DEP_1)
	v_dual_fmac_f32 v38, v44, v65 :: v_dual_fmac_f32 v39, v46, v66
	v_fmac_f32_e32 v38, v47, v66
	s_delay_alu instid0(VALU_DEP_2) | instskip(SKIP_1) | instid1(VALU_DEP_1)
	v_fma_f32 v39, -v47, v67, v39
	s_waitcnt vmcnt(0) lgkmcnt(0)
	v_dual_fmac_f32 v38, v46, v67 :: v_dual_fmac_f32 v39, v16, v40
	s_delay_alu instid0(VALU_DEP_1) | instskip(NEXT) | instid1(VALU_DEP_2)
	v_fmac_f32_e32 v38, v17, v40
	v_fma_f32 v17, -v17, v41, v39
	s_delay_alu instid0(VALU_DEP_1) | instskip(NEXT) | instid1(VALU_DEP_1)
	v_dual_fmac_f32 v38, v16, v41 :: v_dual_fmac_f32 v17, v18, v42
	v_fmac_f32_e32 v38, v19, v42
	s_delay_alu instid0(VALU_DEP_2) | instskip(NEXT) | instid1(VALU_DEP_2)
	v_fma_f32 v39, -v19, v43, v17
	v_fmac_f32_e32 v38, v18, v43
	s_branch .LBB7_13
.LBB7_20:                               ;   in Loop: Header=BB7_11 Depth=1
	s_or_b32 exec_lo, exec_lo, s13
.LBB7_21:                               ;   in Loop: Header=BB7_11 Depth=1
	s_delay_alu instid0(SALU_CYCLE_1)
	s_or_b32 exec_lo, exec_lo, s11
	s_and_saveexec_b32 s1, s0
	s_cbranch_execz .LBB7_10
; %bb.22:                               ;   in Loop: Header=BB7_11 Depth=1
	v_mul_f32_e64 v0, v38, -v21
	s_delay_alu instid0(VALU_DEP_1) | instskip(NEXT) | instid1(VALU_DEP_1)
	v_dual_mul_f32 v1, v38, v20 :: v_dual_fmac_f32 v0, v20, v39
	v_fmac_f32_e32 v1, v21, v39
	s_and_saveexec_b32 s11, s3
	s_delay_alu instid0(SALU_CYCLE_1)
	s_xor_b32 s11, exec_lo, s11
	s_cbranch_execz .LBB7_27
; %bb.23:                               ;   in Loop: Header=BB7_11 Depth=1
	s_and_b32 vcc_lo, exec_lo, s12
	s_mov_b32 s13, -1
	s_cbranch_vccz .LBB7_25
; %bb.24:                               ;   in Loop: Header=BB7_11 Depth=1
	global_load_b64 v[2:3], v[6:7], off
	s_mov_b32 s13, 0
	s_waitcnt vmcnt(0)
	v_fma_f32 v10, v22, v2, v0
	v_fma_f32 v11, v23, v2, v1
	s_delay_alu instid0(VALU_DEP_2) | instskip(NEXT) | instid1(VALU_DEP_2)
	v_fma_f32 v10, -v23, v3, v10
	v_fmac_f32_e32 v11, v22, v3
	global_store_b64 v[6:7], v[10:11], off
.LBB7_25:                               ;   in Loop: Header=BB7_11 Depth=1
	s_and_not1_b32 vcc_lo, exec_lo, s13
	s_cbranch_vccnz .LBB7_27
; %bb.26:                               ;   in Loop: Header=BB7_11 Depth=1
	global_load_b64 v[2:3], v[8:9], off
	s_waitcnt vmcnt(0)
	v_fmac_f32_e32 v0, v22, v2
	v_fmac_f32_e32 v1, v23, v2
	s_delay_alu instid0(VALU_DEP_2) | instskip(NEXT) | instid1(VALU_DEP_2)
	v_fma_f32 v0, -v23, v3, v0
	v_fmac_f32_e32 v1, v22, v3
	global_store_b64 v[8:9], v[0:1], off
                                        ; implicit-def: $vgpr0
.LBB7_27:                               ;   in Loop: Header=BB7_11 Depth=1
	s_and_not1_saveexec_b32 s11, s11
	s_cbranch_execz .LBB7_10
; %bb.28:                               ;   in Loop: Header=BB7_11 Depth=1
	s_and_b32 vcc_lo, exec_lo, s12
	s_mov_b32 s11, -1
	s_cbranch_vccz .LBB7_30
; %bb.29:                               ;   in Loop: Header=BB7_11 Depth=1
	s_mov_b32 s11, 0
	global_store_b64 v[6:7], v[0:1], off
.LBB7_30:                               ;   in Loop: Header=BB7_11 Depth=1
	s_and_not1_b32 vcc_lo, exec_lo, s11
	s_cbranch_vccnz .LBB7_10
; %bb.31:                               ;   in Loop: Header=BB7_11 Depth=1
	global_store_b64 v[8:9], v[0:1], off
	s_branch .LBB7_10
.LBB7_32:
	s_nop 0
	s_sendmsg sendmsg(MSG_DEALLOC_VGPRS)
	s_endpgm
.LBB7_33:
	v_dual_mov_b32 v1, s4 :: v_dual_mov_b32 v2, s5
	flat_load_b32 v20, v[1:2]
	v_cndmask_b32_e64 v1, 0, 1, s6
	v_mov_b32_e32 v21, s5
	s_and_not1_b32 vcc_lo, exec_lo, s6
	s_cbranch_vccnz .LBB7_2
.LBB7_34:
	v_dual_mov_b32 v2, s4 :: v_dual_mov_b32 v3, s5
	flat_load_b32 v21, v[2:3] offset:4
	v_cmp_ne_u32_e32 vcc_lo, 1, v1
	v_mov_b32_e32 v22, s2
	s_cbranch_vccnz .LBB7_3
.LBB7_35:
	v_dual_mov_b32 v2, s2 :: v_dual_mov_b32 v3, s3
	flat_load_b32 v22, v[2:3]
	v_cmp_ne_u32_e32 vcc_lo, 1, v1
	v_mov_b32_e32 v23, s3
	s_cbranch_vccz .LBB7_4
	s_branch .LBB7_5
	.section	.rodata,"a",@progbits
	.p2align	6, 0x0
	.amdhsa_kernel _ZN9rocsparseL29bsrmmnn_small_blockdim_kernelILj64ELj8ELj2Eli21rocsparse_complex_numIfES2_S2_S2_EEv20rocsparse_direction_T3_S4_llNS_24const_host_device_scalarIT7_EEPKT2_PKS4_PKT4_PKT5_llS7_PT6_ll16rocsparse_order_21rocsparse_index_base_b
		.amdhsa_group_segment_fixed_size 1792
		.amdhsa_private_segment_fixed_size 0
		.amdhsa_kernarg_size 392
		.amdhsa_user_sgpr_count 14
		.amdhsa_user_sgpr_dispatch_ptr 0
		.amdhsa_user_sgpr_queue_ptr 0
		.amdhsa_user_sgpr_kernarg_segment_ptr 1
		.amdhsa_user_sgpr_dispatch_id 0
		.amdhsa_user_sgpr_private_segment_size 0
		.amdhsa_wavefront_size32 1
		.amdhsa_uses_dynamic_stack 0
		.amdhsa_enable_private_segment 0
		.amdhsa_system_sgpr_workgroup_id_x 1
		.amdhsa_system_sgpr_workgroup_id_y 1
		.amdhsa_system_sgpr_workgroup_id_z 0
		.amdhsa_system_sgpr_workgroup_info 0
		.amdhsa_system_vgpr_workitem_id 0
		.amdhsa_next_free_vgpr 76
		.amdhsa_next_free_sgpr 28
		.amdhsa_reserve_vcc 1
		.amdhsa_float_round_mode_32 0
		.amdhsa_float_round_mode_16_64 0
		.amdhsa_float_denorm_mode_32 3
		.amdhsa_float_denorm_mode_16_64 3
		.amdhsa_dx10_clamp 1
		.amdhsa_ieee_mode 1
		.amdhsa_fp16_overflow 0
		.amdhsa_workgroup_processor_mode 1
		.amdhsa_memory_ordered 1
		.amdhsa_forward_progress 0
		.amdhsa_shared_vgpr_count 0
		.amdhsa_exception_fp_ieee_invalid_op 0
		.amdhsa_exception_fp_denorm_src 0
		.amdhsa_exception_fp_ieee_div_zero 0
		.amdhsa_exception_fp_ieee_overflow 0
		.amdhsa_exception_fp_ieee_underflow 0
		.amdhsa_exception_fp_ieee_inexact 0
		.amdhsa_exception_int_div_zero 0
	.end_amdhsa_kernel
	.section	.text._ZN9rocsparseL29bsrmmnn_small_blockdim_kernelILj64ELj8ELj2Eli21rocsparse_complex_numIfES2_S2_S2_EEv20rocsparse_direction_T3_S4_llNS_24const_host_device_scalarIT7_EEPKT2_PKS4_PKT4_PKT5_llS7_PT6_ll16rocsparse_order_21rocsparse_index_base_b,"axG",@progbits,_ZN9rocsparseL29bsrmmnn_small_blockdim_kernelILj64ELj8ELj2Eli21rocsparse_complex_numIfES2_S2_S2_EEv20rocsparse_direction_T3_S4_llNS_24const_host_device_scalarIT7_EEPKT2_PKS4_PKT4_PKT5_llS7_PT6_ll16rocsparse_order_21rocsparse_index_base_b,comdat
.Lfunc_end7:
	.size	_ZN9rocsparseL29bsrmmnn_small_blockdim_kernelILj64ELj8ELj2Eli21rocsparse_complex_numIfES2_S2_S2_EEv20rocsparse_direction_T3_S4_llNS_24const_host_device_scalarIT7_EEPKT2_PKS4_PKT4_PKT5_llS7_PT6_ll16rocsparse_order_21rocsparse_index_base_b, .Lfunc_end7-_ZN9rocsparseL29bsrmmnn_small_blockdim_kernelILj64ELj8ELj2Eli21rocsparse_complex_numIfES2_S2_S2_EEv20rocsparse_direction_T3_S4_llNS_24const_host_device_scalarIT7_EEPKT2_PKS4_PKT4_PKT5_llS7_PT6_ll16rocsparse_order_21rocsparse_index_base_b
                                        ; -- End function
	.section	.AMDGPU.csdata,"",@progbits
; Kernel info:
; codeLenInByte = 2448
; NumSgprs: 30
; NumVgprs: 76
; ScratchSize: 0
; MemoryBound: 0
; FloatMode: 240
; IeeeMode: 1
; LDSByteSize: 1792 bytes/workgroup (compile time only)
; SGPRBlocks: 3
; VGPRBlocks: 9
; NumSGPRsForWavesPerEU: 30
; NumVGPRsForWavesPerEU: 76
; Occupancy: 16
; WaveLimiterHint : 1
; COMPUTE_PGM_RSRC2:SCRATCH_EN: 0
; COMPUTE_PGM_RSRC2:USER_SGPR: 14
; COMPUTE_PGM_RSRC2:TRAP_HANDLER: 0
; COMPUTE_PGM_RSRC2:TGID_X_EN: 1
; COMPUTE_PGM_RSRC2:TGID_Y_EN: 1
; COMPUTE_PGM_RSRC2:TGID_Z_EN: 0
; COMPUTE_PGM_RSRC2:TIDIG_COMP_CNT: 0
	.section	.text._ZN9rocsparseL29bsrmmnn_small_blockdim_kernelILj64ELj8ELj2Ell21rocsparse_complex_numIfES2_S2_S2_EEv20rocsparse_direction_T3_S4_llNS_24const_host_device_scalarIT7_EEPKT2_PKS4_PKT4_PKT5_llS7_PT6_ll16rocsparse_order_21rocsparse_index_base_b,"axG",@progbits,_ZN9rocsparseL29bsrmmnn_small_blockdim_kernelILj64ELj8ELj2Ell21rocsparse_complex_numIfES2_S2_S2_EEv20rocsparse_direction_T3_S4_llNS_24const_host_device_scalarIT7_EEPKT2_PKS4_PKT4_PKT5_llS7_PT6_ll16rocsparse_order_21rocsparse_index_base_b,comdat
	.globl	_ZN9rocsparseL29bsrmmnn_small_blockdim_kernelILj64ELj8ELj2Ell21rocsparse_complex_numIfES2_S2_S2_EEv20rocsparse_direction_T3_S4_llNS_24const_host_device_scalarIT7_EEPKT2_PKS4_PKT4_PKT5_llS7_PT6_ll16rocsparse_order_21rocsparse_index_base_b ; -- Begin function _ZN9rocsparseL29bsrmmnn_small_blockdim_kernelILj64ELj8ELj2Ell21rocsparse_complex_numIfES2_S2_S2_EEv20rocsparse_direction_T3_S4_llNS_24const_host_device_scalarIT7_EEPKT2_PKS4_PKT4_PKT5_llS7_PT6_ll16rocsparse_order_21rocsparse_index_base_b
	.p2align	8
	.type	_ZN9rocsparseL29bsrmmnn_small_blockdim_kernelILj64ELj8ELj2Ell21rocsparse_complex_numIfES2_S2_S2_EEv20rocsparse_direction_T3_S4_llNS_24const_host_device_scalarIT7_EEPKT2_PKS4_PKT4_PKT5_llS7_PT6_ll16rocsparse_order_21rocsparse_index_base_b,@function
_ZN9rocsparseL29bsrmmnn_small_blockdim_kernelILj64ELj8ELj2Ell21rocsparse_complex_numIfES2_S2_S2_EEv20rocsparse_direction_T3_S4_llNS_24const_host_device_scalarIT7_EEPKT2_PKS4_PKT4_PKT5_llS7_PT6_ll16rocsparse_order_21rocsparse_index_base_b: ; @_ZN9rocsparseL29bsrmmnn_small_blockdim_kernelILj64ELj8ELj2Ell21rocsparse_complex_numIfES2_S2_S2_EEv20rocsparse_direction_T3_S4_llNS_24const_host_device_scalarIT7_EEPKT2_PKS4_PKT4_PKT5_llS7_PT6_ll16rocsparse_order_21rocsparse_index_base_b
; %bb.0:
	s_clause 0x2
	s_load_b128 s[20:23], s[0:1], 0x80
	s_load_b64 s[4:5], s[0:1], 0x28
	s_load_b64 s[2:3], s[0:1], 0x60
	s_waitcnt lgkmcnt(0)
	s_bitcmp1_b32 s22, 0
	v_mov_b32_e32 v22, s4
	s_cselect_b32 s6, -1, 0
	s_delay_alu instid0(SALU_CYCLE_1)
	s_and_b32 vcc_lo, exec_lo, s6
	s_xor_b32 s6, s6, -1
	s_cbranch_vccz .LBB8_33
; %bb.1:
	v_cndmask_b32_e64 v1, 0, 1, s6
	v_mov_b32_e32 v23, s5
	s_and_not1_b32 vcc_lo, exec_lo, s6
	s_cbranch_vccz .LBB8_34
.LBB8_2:
	s_delay_alu instid0(VALU_DEP_2)
	v_cmp_ne_u32_e32 vcc_lo, 1, v1
	v_mov_b32_e32 v24, s2
	s_cbranch_vccz .LBB8_35
.LBB8_3:
	v_cmp_ne_u32_e32 vcc_lo, 1, v1
	v_mov_b32_e32 v25, s3
	s_cbranch_vccnz .LBB8_5
.LBB8_4:
	v_dual_mov_b32 v1, s2 :: v_dual_mov_b32 v2, s3
	flat_load_b32 v25, v[1:2] offset:4
.LBB8_5:
	s_waitcnt vmcnt(0) lgkmcnt(0)
	v_cmp_eq_f32_e32 vcc_lo, 0, v22
	v_cmp_eq_f32_e64 s2, 0, v23
	s_delay_alu instid0(VALU_DEP_1)
	s_and_b32 s4, vcc_lo, s2
	s_mov_b32 s2, -1
	s_and_saveexec_b32 s3, s4
; %bb.6:
	v_cmp_neq_f32_e32 vcc_lo, 1.0, v24
	v_cmp_neq_f32_e64 s2, 0, v25
	s_delay_alu instid0(VALU_DEP_1) | instskip(NEXT) | instid1(SALU_CYCLE_1)
	s_or_b32 s2, vcc_lo, s2
	s_or_not1_b32 s2, s2, exec_lo
; %bb.7:
	s_or_b32 exec_lo, exec_lo, s3
	s_and_saveexec_b32 s3, s2
	s_cbranch_execz .LBB8_32
; %bb.8:
	s_clause 0x1
	s_load_b32 s3, s[0:1], 0x90
	s_load_b128 s[16:19], s[0:1], 0x8
	s_add_u32 s2, s0, 0x90
	s_addc_u32 s5, s1, 0
	v_mov_b32_e32 v4, 0
	s_delay_alu instid0(VALU_DEP_1) | instskip(SKIP_3) | instid1(SALU_CYCLE_1)
	v_mov_b32_e32 v7, v4
	s_waitcnt lgkmcnt(0)
	s_cmp_lt_u32 s14, s3
	s_cselect_b32 s4, 12, 18
	s_add_u32 s4, s2, s4
	s_addc_u32 s5, s5, 0
	s_mov_b32 s2, 0
	global_load_u16 v3, v4, s[4:5]
	s_waitcnt vmcnt(0)
	v_mad_u64_u32 v[1:2], null, s14, v3, v[0:1]
	s_delay_alu instid0(VALU_DEP_1) | instskip(NEXT) | instid1(VALU_DEP_1)
	v_lshrrev_b32_e32 v6, 4, v1
	v_cmp_gt_i64_e32 vcc_lo, s[16:17], v[6:7]
	s_and_b32 exec_lo, exec_lo, vcc_lo
	s_cbranch_execz .LBB8_32
; %bb.9:
	s_clause 0x2
	s_load_b128 s[24:27], s[0:1], 0x68
	s_load_b256 s[4:11], s[0:1], 0x30
	s_load_b64 s[22:23], s[0:1], 0x50
	v_lshrrev_b32_e32 v18, 3, v1
	v_and_b32_e32 v26, 7, v1
	v_mul_lo_u32 v5, s3, v3
	v_mov_b32_e32 v3, v4
	v_lshrrev_b32_e32 v19, 3, v0
	s_load_b32 s1, s[0:1], 0x0
	v_lshl_or_b32 v2, s15, 3, v26
	v_cmp_neq_f32_e32 vcc_lo, 0, v24
	v_cmp_neq_f32_e64 s0, 0, v25
	v_mul_u32_u24_e32 v20, 3, v26
	v_lshrrev_b32_e32 v29, 4, v5
	v_lshl_or_b32 v27, v19, 6, 0x600
	v_mul_u32_u24_e32 v28, 0xc0, v19
	s_or_b32 s3, vcc_lo, s0
	v_cmp_gt_i64_e64 s0, s[18:19], v[2:3]
	s_cmp_lg_u32 s20, 1
	v_bfe_u32 v10, v1, 3, 1
	s_waitcnt lgkmcnt(0)
	v_mad_u64_u32 v[8:9], null, v18, s26, 0
	v_mov_b32_e32 v11, v4
	v_mad_u64_u32 v[12:13], null, v2, s22, 0
	v_mad_u64_u32 v[14:15], null, v2, s26, 0
	s_delay_alu instid0(VALU_DEP_4)
	v_dual_mov_b32 v0, v9 :: v_dual_lshlrev_b32 v5, 3, v20
	s_cselect_b32 s12, -1, 0
	s_cmp_eq_u32 s1, 0
	v_lshl_or_b32 v30, v26, 3, v27
	s_cselect_b32 s1, -1, 0
	v_mad_u64_u32 v[16:17], null, v18, s27, v[0:1]
	v_mov_b32_e32 v0, v13
	v_lshlrev_b64 v[17:18], 3, v[2:3]
	v_mov_b32_e32 v3, v15
	v_mad_u32_u24 v31, 0xc0, v19, v5
	v_mov_b32_e32 v9, v16
	v_mad_u64_u32 v[15:16], null, v2, s23, v[0:1]
	s_delay_alu instid0(VALU_DEP_4) | instskip(NEXT) | instid1(VALU_DEP_3)
	v_mad_u64_u32 v[19:20], null, v2, s27, v[3:4]
	v_lshlrev_b64 v[2:3], 3, v[8:9]
	v_add_co_u32 v0, vcc_lo, s24, v17
	v_add_co_ci_u32_e32 v5, vcc_lo, s25, v18, vcc_lo
	v_mov_b32_e32 v13, v15
	v_mov_b32_e32 v15, v19
	s_delay_alu instid0(VALU_DEP_4) | instskip(SKIP_4) | instid1(VALU_DEP_4)
	v_add_co_u32 v8, vcc_lo, v0, v2
	v_and_b32_e32 v2, -8, v1
	v_add_co_ci_u32_e32 v9, vcc_lo, v5, v3, vcc_lo
	v_cndmask_b32_e64 v3, 0, 1, s1
	v_lshlrev_b64 v[0:1], 3, v[14:15]
	v_add_co_u32 v5, s13, s24, v2
	s_delay_alu instid0(VALU_DEP_1) | instskip(NEXT) | instid1(VALU_DEP_4)
	v_add_co_ci_u32_e64 v14, null, s25, 0, s13
	v_lshlrev_b64 v[2:3], v3, v[10:11]
	v_lshlrev_b64 v[12:13], 3, v[12:13]
	s_delay_alu instid0(VALU_DEP_4) | instskip(NEXT) | instid1(VALU_DEP_4)
	v_add_co_u32 v10, vcc_lo, v5, v0
	v_add_co_ci_u32_e32 v11, vcc_lo, v14, v1, vcc_lo
	s_delay_alu instid0(VALU_DEP_4) | instskip(SKIP_1) | instid1(VALU_DEP_4)
	v_lshlrev_b64 v[0:1], 3, v[2:3]
	s_and_b32 s1, s1, exec_lo
	v_add_co_u32 v32, vcc_lo, s10, v12
	s_cselect_b32 s1, 1, 2
	s_add_u32 s8, s8, 4
	v_add_co_ci_u32_e32 v33, vcc_lo, s11, v13, vcc_lo
	s_addc_u32 s9, s9, 0
	v_add_co_u32 v34, vcc_lo, s8, v0
	v_add_co_ci_u32_e32 v35, vcc_lo, s9, v1, vcc_lo
	v_sub_co_u32 v36, s10, v26, s21
	v_add_co_u32 v38, vcc_lo, s1, v2
	v_sub_co_ci_u32_e64 v37, null, 0, 0, s10
	v_add_co_ci_u32_e32 v39, vcc_lo, 0, v3, vcc_lo
	s_mov_b32 s10, s21
	s_branch .LBB8_11
.LBB8_10:                               ;   in Loop: Header=BB8_11 Depth=1
	s_or_b32 exec_lo, exec_lo, s1
	v_add_co_u32 v6, vcc_lo, v6, v29
	v_add_co_ci_u32_e32 v7, vcc_lo, 0, v7, vcc_lo
	s_delay_alu instid0(VALU_DEP_1) | instskip(SKIP_1) | instid1(SALU_CYCLE_1)
	v_cmp_le_i64_e32 vcc_lo, s[16:17], v[6:7]
	s_or_b32 s2, vcc_lo, s2
	s_and_not1_b32 exec_lo, exec_lo, s2
	s_cbranch_execz .LBB8_32
.LBB8_11:                               ; =>This Loop Header: Depth=1
                                        ;     Child Loop BB8_14 Depth 2
	v_lshlrev_b64 v[0:1], 3, v[6:7]
	v_dual_mov_b32 v40, 0 :: v_dual_mov_b32 v41, 0
	s_mov_b32 s11, exec_lo
	s_delay_alu instid0(VALU_DEP_2) | instskip(NEXT) | instid1(VALU_DEP_3)
	v_add_co_u32 v0, vcc_lo, s4, v0
	v_add_co_ci_u32_e32 v1, vcc_lo, s5, v1, vcc_lo
	global_load_b128 v[0:3], v[0:1], off
	s_waitcnt vmcnt(0)
	v_cmpx_lt_i64_e64 v[0:1], v[2:3]
	s_cbranch_execz .LBB8_21
; %bb.12:                               ;   in Loop: Header=BB8_11 Depth=1
	v_add_co_u32 v12, vcc_lo, v36, v0
	v_add_co_ci_u32_e32 v13, vcc_lo, v37, v1, vcc_lo
	v_sub_co_u32 v2, vcc_lo, v2, s10
	v_subrev_co_ci_u32_e32 v3, vcc_lo, 0, v3, vcc_lo
	s_delay_alu instid0(VALU_DEP_3) | instskip(SKIP_3) | instid1(VALU_DEP_4)
	v_lshlrev_b64 v[14:15], 2, v[12:13]
	v_sub_co_u32 v0, vcc_lo, v0, s10
	v_subrev_co_ci_u32_e32 v1, vcc_lo, 0, v1, vcc_lo
	v_lshlrev_b64 v[16:17], 5, v[12:13]
	v_add_co_u32 v14, vcc_lo, v38, v14
	v_add_co_ci_u32_e32 v15, vcc_lo, v39, v15, vcc_lo
	v_lshlrev_b64 v[18:19], 3, v[12:13]
	s_delay_alu instid0(VALU_DEP_4) | instskip(SKIP_1) | instid1(VALU_DEP_4)
	v_add_co_u32 v12, vcc_lo, v34, v16
	v_add_co_ci_u32_e32 v13, vcc_lo, v35, v17, vcc_lo
	v_lshlrev_b64 v[16:17], 3, v[14:15]
	s_delay_alu instid0(VALU_DEP_4) | instskip(SKIP_2) | instid1(VALU_DEP_4)
	v_add_co_u32 v14, vcc_lo, s6, v18
	v_add_co_ci_u32_e32 v15, vcc_lo, s7, v19, vcc_lo
	v_dual_mov_b32 v40, 0 :: v_dual_mov_b32 v41, 0
	v_add_co_u32 v16, vcc_lo, s8, v16
	v_add_co_ci_u32_e32 v17, vcc_lo, s9, v17, vcc_lo
	s_mov_b32 s13, 0
	s_branch .LBB8_14
.LBB8_13:                               ;   in Loop: Header=BB8_14 Depth=2
	s_or_b32 exec_lo, exec_lo, s1
	v_add_co_u32 v0, vcc_lo, v0, 8
	v_add_co_ci_u32_e32 v1, vcc_lo, 0, v1, vcc_lo
	v_add_co_u32 v12, vcc_lo, 0x100, v12
	v_add_co_ci_u32_e32 v13, vcc_lo, 0, v13, vcc_lo
	;; [unrolled: 2-line block ×3, first 2 shown]
	v_cmp_ge_i64_e32 vcc_lo, v[0:1], v[2:3]
	v_add_co_u32 v16, s1, 0x100, v16
	s_delay_alu instid0(VALU_DEP_1) | instskip(SKIP_1) | instid1(SALU_CYCLE_1)
	v_add_co_ci_u32_e64 v17, s1, 0, v17, s1
	s_or_b32 s13, vcc_lo, s13
	s_and_not1_b32 exec_lo, exec_lo, s13
	s_cbranch_execz .LBB8_20
.LBB8_14:                               ;   Parent Loop BB8_11 Depth=1
                                        ; =>  This Inner Loop Header: Depth=2
	v_add_co_u32 v18, vcc_lo, v26, v0
	v_add_co_ci_u32_e32 v19, vcc_lo, 0, v1, vcc_lo
	s_mov_b32 s1, exec_lo
                                        ; implicit-def: $sgpr14
	s_delay_alu instid0(VALU_DEP_1)
	v_cmpx_ge_i64_e64 v[18:19], v[2:3]
	s_xor_b32 s1, exec_lo, s1
	s_cbranch_execz .LBB8_16
; %bb.15:                               ;   in Loop: Header=BB8_14 Depth=2
	v_mov_b32_e32 v5, v4
	s_mov_b32 s14, 0
	ds_store_b64 v30, v[4:5]
.LBB8_16:                               ;   in Loop: Header=BB8_14 Depth=2
	s_or_saveexec_b32 s1, s1
	v_dual_mov_b32 v18, s14 :: v_dual_mov_b32 v19, s14
	v_dual_mov_b32 v20, s14 :: v_dual_mov_b32 v21, s14
	s_xor_b32 exec_lo, exec_lo, s1
	s_cbranch_execz .LBB8_18
; %bb.17:                               ;   in Loop: Header=BB8_14 Depth=2
	global_load_b64 v[42:43], v[14:15], off
	global_load_b64 v[18:19], v[12:13], off offset:-4
	global_load_b64 v[20:21], v[16:17], off offset:-4
	s_waitcnt vmcnt(2)
	v_sub_co_u32 v42, vcc_lo, v42, s10
	v_subrev_co_ci_u32_e32 v43, vcc_lo, 0, v43, vcc_lo
	s_delay_alu instid0(VALU_DEP_1)
	v_lshlrev_b64 v[42:43], 1, v[42:43]
	ds_store_b64 v30, v[42:43]
.LBB8_18:                               ;   in Loop: Header=BB8_14 Depth=2
	s_or_b32 exec_lo, exec_lo, s1
	s_waitcnt vmcnt(0)
	ds_store_2addr_b64 v31, v[18:19], v[20:21] offset1:1
	s_waitcnt lgkmcnt(0)
	s_waitcnt_vscnt null, 0x0
	s_barrier
	buffer_gl0_inv
	s_and_saveexec_b32 s1, s0
	s_cbranch_execz .LBB8_13
; %bb.19:                               ;   in Loop: Header=BB8_14 Depth=2
	ds_load_b128 v[18:21], v27
	ds_load_b128 v[42:45], v27 offset:16
	ds_load_b128 v[58:61], v27 offset:48
	s_waitcnt lgkmcnt(2)
	v_lshlrev_b64 v[18:19], 3, v[18:19]
	s_waitcnt lgkmcnt(1)
	v_lshlrev_b64 v[42:43], 3, v[42:43]
	v_lshlrev_b64 v[54:55], 3, v[44:45]
	s_waitcnt lgkmcnt(0)
	v_lshlrev_b64 v[58:59], 3, v[58:59]
	v_add_co_u32 v18, vcc_lo, v32, v18
	v_add_co_ci_u32_e32 v19, vcc_lo, v33, v19, vcc_lo
	global_load_b128 v[46:49], v[18:19], off
	v_lshlrev_b64 v[18:19], 3, v[20:21]
	s_delay_alu instid0(VALU_DEP_1) | instskip(NEXT) | instid1(VALU_DEP_2)
	v_add_co_u32 v18, vcc_lo, v32, v18
	v_add_co_ci_u32_e32 v19, vcc_lo, v33, v19, vcc_lo
	v_add_co_u32 v42, vcc_lo, v32, v42
	v_add_co_ci_u32_e32 v43, vcc_lo, v33, v43, vcc_lo
	global_load_b128 v[18:21], v[18:19], off
	v_add_co_u32 v54, vcc_lo, v32, v54
	global_load_b128 v[50:53], v[42:43], off
	v_add_co_ci_u32_e32 v55, vcc_lo, v33, v55, vcc_lo
	ds_load_b128 v[42:45], v27 offset:32
	global_load_b128 v[54:57], v[54:55], off
	s_waitcnt lgkmcnt(0)
	v_lshlrev_b64 v[42:43], 3, v[42:43]
	s_delay_alu instid0(VALU_DEP_1) | instskip(NEXT) | instid1(VALU_DEP_2)
	v_add_co_u32 v42, vcc_lo, v32, v42
	v_add_co_ci_u32_e32 v43, vcc_lo, v33, v43, vcc_lo
	global_load_b128 v[62:65], v[42:43], off
	v_lshlrev_b64 v[42:43], 3, v[44:45]
	s_delay_alu instid0(VALU_DEP_1) | instskip(NEXT) | instid1(VALU_DEP_2)
	v_add_co_u32 v42, vcc_lo, v32, v42
	v_add_co_ci_u32_e32 v43, vcc_lo, v33, v43, vcc_lo
	v_add_co_u32 v58, vcc_lo, v32, v58
	v_add_co_ci_u32_e32 v59, vcc_lo, v33, v59, vcc_lo
	s_clause 0x1
	global_load_b128 v[42:45], v[42:43], off
	global_load_b128 v[66:69], v[58:59], off
	v_lshlrev_b64 v[58:59], 3, v[60:61]
	s_delay_alu instid0(VALU_DEP_1) | instskip(NEXT) | instid1(VALU_DEP_2)
	v_add_co_u32 v58, vcc_lo, v32, v58
	v_add_co_ci_u32_e32 v59, vcc_lo, v33, v59, vcc_lo
	global_load_b128 v[58:61], v[58:59], off
	ds_load_b128 v[70:73], v28
	ds_load_2addr_b64 v[74:77], v28 offset0:3 offset1:4
	s_waitcnt vmcnt(7) lgkmcnt(1)
	v_fmac_f32_e32 v40, v71, v46
	s_delay_alu instid0(VALU_DEP_1) | instskip(NEXT) | instid1(VALU_DEP_1)
	v_fmac_f32_e32 v40, v70, v47
	v_dual_fmac_f32 v41, v70, v46 :: v_dual_fmac_f32 v40, v73, v48
	s_delay_alu instid0(VALU_DEP_1) | instskip(NEXT) | instid1(VALU_DEP_1)
	v_fma_f32 v5, -v71, v47, v41
	v_fmac_f32_e32 v5, v72, v48
	s_delay_alu instid0(VALU_DEP_1) | instskip(NEXT) | instid1(VALU_DEP_4)
	v_fma_f32 v5, -v73, v49, v5
	v_fmac_f32_e32 v40, v72, v49
	ds_load_b128 v[46:49], v28 offset:48
	s_waitcnt vmcnt(6) lgkmcnt(1)
	v_fmac_f32_e32 v5, v74, v18
	v_fmac_f32_e32 v40, v75, v18
	s_delay_alu instid0(VALU_DEP_2) | instskip(NEXT) | instid1(VALU_DEP_1)
	v_fma_f32 v5, -v75, v19, v5
	v_dual_fmac_f32 v40, v74, v19 :: v_dual_fmac_f32 v5, v76, v20
	s_delay_alu instid0(VALU_DEP_1) | instskip(NEXT) | instid1(VALU_DEP_2)
	v_fma_f32 v5, -v77, v21, v5
	v_fmac_f32_e32 v40, v77, v20
	s_delay_alu instid0(VALU_DEP_1) | instskip(SKIP_3) | instid1(VALU_DEP_1)
	v_fmac_f32_e32 v40, v76, v21
	ds_load_2addr_b64 v[18:21], v28 offset0:9 offset1:10
	s_waitcnt vmcnt(5) lgkmcnt(1)
	v_fmac_f32_e32 v5, v46, v50
	v_fma_f32 v5, -v47, v51, v5
	s_delay_alu instid0(VALU_DEP_1) | instskip(NEXT) | instid1(VALU_DEP_1)
	v_fmac_f32_e32 v5, v48, v52
	v_fma_f32 v5, -v49, v53, v5
	s_waitcnt vmcnt(4) lgkmcnt(0)
	s_delay_alu instid0(VALU_DEP_1) | instskip(SKIP_1) | instid1(VALU_DEP_2)
	v_fmac_f32_e32 v5, v18, v54
	v_fmac_f32_e32 v40, v47, v50
	v_fma_f32 v5, -v19, v55, v5
	s_delay_alu instid0(VALU_DEP_1) | instskip(NEXT) | instid1(VALU_DEP_1)
	v_dual_fmac_f32 v40, v46, v51 :: v_dual_fmac_f32 v5, v20, v56
	v_fma_f32 v5, -v21, v57, v5
	s_delay_alu instid0(VALU_DEP_2) | instskip(NEXT) | instid1(VALU_DEP_1)
	v_fmac_f32_e32 v40, v49, v52
	v_fmac_f32_e32 v40, v48, v53
	ds_load_b128 v[46:49], v28 offset:96
	v_fmac_f32_e32 v40, v19, v54
	s_delay_alu instid0(VALU_DEP_1) | instskip(NEXT) | instid1(VALU_DEP_1)
	v_fmac_f32_e32 v40, v18, v55
	v_fmac_f32_e32 v40, v21, v56
	s_delay_alu instid0(VALU_DEP_1) | instskip(SKIP_4) | instid1(VALU_DEP_2)
	v_fmac_f32_e32 v40, v20, v57
	ds_load_2addr_b64 v[18:21], v28 offset0:15 offset1:16
	s_waitcnt vmcnt(3) lgkmcnt(1)
	v_fmac_f32_e32 v5, v46, v62
	v_fmac_f32_e32 v40, v47, v62
	v_fma_f32 v5, -v47, v63, v5
	s_delay_alu instid0(VALU_DEP_1) | instskip(NEXT) | instid1(VALU_DEP_1)
	v_dual_fmac_f32 v40, v46, v63 :: v_dual_fmac_f32 v5, v48, v64
	v_fmac_f32_e32 v40, v49, v64
	s_delay_alu instid0(VALU_DEP_2) | instskip(NEXT) | instid1(VALU_DEP_2)
	v_fma_f32 v5, -v49, v65, v5
	v_fmac_f32_e32 v40, v48, v65
	ds_load_b128 v[46:49], v28 offset:144
	s_waitcnt vmcnt(2) lgkmcnt(1)
	v_fmac_f32_e32 v5, v18, v42
	v_fmac_f32_e32 v40, v19, v42
	s_delay_alu instid0(VALU_DEP_2) | instskip(NEXT) | instid1(VALU_DEP_1)
	v_fma_f32 v5, -v19, v43, v5
	v_dual_fmac_f32 v40, v18, v43 :: v_dual_fmac_f32 v5, v20, v44
	s_delay_alu instid0(VALU_DEP_1) | instskip(NEXT) | instid1(VALU_DEP_2)
	v_fmac_f32_e32 v40, v21, v44
	v_fma_f32 v5, -v21, v45, v5
	s_delay_alu instid0(VALU_DEP_2) | instskip(SKIP_4) | instid1(VALU_DEP_2)
	v_fmac_f32_e32 v40, v20, v45
	ds_load_2addr_b64 v[18:21], v28 offset0:21 offset1:22
	s_waitcnt vmcnt(1) lgkmcnt(1)
	v_fmac_f32_e32 v5, v46, v66
	v_fmac_f32_e32 v40, v47, v66
	v_fma_f32 v5, -v47, v67, v5
	s_delay_alu instid0(VALU_DEP_1) | instskip(NEXT) | instid1(VALU_DEP_1)
	v_dual_fmac_f32 v40, v46, v67 :: v_dual_fmac_f32 v5, v48, v68
	v_fmac_f32_e32 v40, v49, v68
	s_delay_alu instid0(VALU_DEP_2) | instskip(SKIP_1) | instid1(VALU_DEP_1)
	v_fma_f32 v5, -v49, v69, v5
	s_waitcnt vmcnt(0) lgkmcnt(0)
	v_dual_fmac_f32 v40, v48, v69 :: v_dual_fmac_f32 v5, v18, v58
	s_delay_alu instid0(VALU_DEP_1) | instskip(NEXT) | instid1(VALU_DEP_2)
	v_fmac_f32_e32 v40, v19, v58
	v_fma_f32 v5, -v19, v59, v5
	s_delay_alu instid0(VALU_DEP_1) | instskip(NEXT) | instid1(VALU_DEP_1)
	v_dual_fmac_f32 v40, v18, v59 :: v_dual_fmac_f32 v5, v20, v60
	v_fmac_f32_e32 v40, v21, v60
	s_delay_alu instid0(VALU_DEP_2) | instskip(NEXT) | instid1(VALU_DEP_2)
	v_fma_f32 v41, -v21, v61, v5
	v_fmac_f32_e32 v40, v20, v61
	s_branch .LBB8_13
.LBB8_20:                               ;   in Loop: Header=BB8_11 Depth=1
	s_or_b32 exec_lo, exec_lo, s13
.LBB8_21:                               ;   in Loop: Header=BB8_11 Depth=1
	s_delay_alu instid0(SALU_CYCLE_1)
	s_or_b32 exec_lo, exec_lo, s11
	s_and_saveexec_b32 s1, s0
	s_cbranch_execz .LBB8_10
; %bb.22:                               ;   in Loop: Header=BB8_11 Depth=1
	v_mul_f32_e64 v0, v40, -v23
	s_delay_alu instid0(VALU_DEP_1) | instskip(NEXT) | instid1(VALU_DEP_1)
	v_dual_mul_f32 v1, v40, v22 :: v_dual_fmac_f32 v0, v22, v41
	v_fmac_f32_e32 v1, v23, v41
	s_and_saveexec_b32 s11, s3
	s_delay_alu instid0(SALU_CYCLE_1)
	s_xor_b32 s11, exec_lo, s11
	s_cbranch_execz .LBB8_27
; %bb.23:                               ;   in Loop: Header=BB8_11 Depth=1
	s_and_b32 vcc_lo, exec_lo, s12
	s_mov_b32 s13, -1
	s_cbranch_vccz .LBB8_25
; %bb.24:                               ;   in Loop: Header=BB8_11 Depth=1
	global_load_b64 v[2:3], v[8:9], off
	s_mov_b32 s13, 0
	s_waitcnt vmcnt(0)
	v_fma_f32 v5, v24, v2, v0
	v_fma_f32 v13, v25, v2, v1
	s_delay_alu instid0(VALU_DEP_2) | instskip(NEXT) | instid1(VALU_DEP_2)
	v_fma_f32 v12, -v25, v3, v5
	v_fmac_f32_e32 v13, v24, v3
	global_store_b64 v[8:9], v[12:13], off
.LBB8_25:                               ;   in Loop: Header=BB8_11 Depth=1
	s_and_not1_b32 vcc_lo, exec_lo, s13
	s_cbranch_vccnz .LBB8_27
; %bb.26:                               ;   in Loop: Header=BB8_11 Depth=1
	global_load_b64 v[2:3], v[10:11], off
	s_waitcnt vmcnt(0)
	v_fmac_f32_e32 v0, v24, v2
	v_fmac_f32_e32 v1, v25, v2
	s_delay_alu instid0(VALU_DEP_2) | instskip(NEXT) | instid1(VALU_DEP_2)
	v_fma_f32 v0, -v25, v3, v0
	v_fmac_f32_e32 v1, v24, v3
	global_store_b64 v[10:11], v[0:1], off
                                        ; implicit-def: $vgpr0
.LBB8_27:                               ;   in Loop: Header=BB8_11 Depth=1
	s_and_not1_saveexec_b32 s11, s11
	s_cbranch_execz .LBB8_10
; %bb.28:                               ;   in Loop: Header=BB8_11 Depth=1
	s_and_b32 vcc_lo, exec_lo, s12
	s_mov_b32 s11, -1
	s_cbranch_vccz .LBB8_30
; %bb.29:                               ;   in Loop: Header=BB8_11 Depth=1
	s_mov_b32 s11, 0
	global_store_b64 v[8:9], v[0:1], off
.LBB8_30:                               ;   in Loop: Header=BB8_11 Depth=1
	s_and_not1_b32 vcc_lo, exec_lo, s11
	s_cbranch_vccnz .LBB8_10
; %bb.31:                               ;   in Loop: Header=BB8_11 Depth=1
	global_store_b64 v[10:11], v[0:1], off
	s_branch .LBB8_10
.LBB8_32:
	s_nop 0
	s_sendmsg sendmsg(MSG_DEALLOC_VGPRS)
	s_endpgm
.LBB8_33:
	v_dual_mov_b32 v1, s4 :: v_dual_mov_b32 v2, s5
	flat_load_b32 v22, v[1:2]
	v_cndmask_b32_e64 v1, 0, 1, s6
	v_mov_b32_e32 v23, s5
	s_and_not1_b32 vcc_lo, exec_lo, s6
	s_cbranch_vccnz .LBB8_2
.LBB8_34:
	v_dual_mov_b32 v2, s4 :: v_dual_mov_b32 v3, s5
	flat_load_b32 v23, v[2:3] offset:4
	v_cmp_ne_u32_e32 vcc_lo, 1, v1
	v_mov_b32_e32 v24, s2
	s_cbranch_vccnz .LBB8_3
.LBB8_35:
	v_dual_mov_b32 v2, s2 :: v_dual_mov_b32 v3, s3
	flat_load_b32 v24, v[2:3]
	v_cmp_ne_u32_e32 vcc_lo, 1, v1
	v_mov_b32_e32 v25, s3
	s_cbranch_vccz .LBB8_4
	s_branch .LBB8_5
	.section	.rodata,"a",@progbits
	.p2align	6, 0x0
	.amdhsa_kernel _ZN9rocsparseL29bsrmmnn_small_blockdim_kernelILj64ELj8ELj2Ell21rocsparse_complex_numIfES2_S2_S2_EEv20rocsparse_direction_T3_S4_llNS_24const_host_device_scalarIT7_EEPKT2_PKS4_PKT4_PKT5_llS7_PT6_ll16rocsparse_order_21rocsparse_index_base_b
		.amdhsa_group_segment_fixed_size 2048
		.amdhsa_private_segment_fixed_size 0
		.amdhsa_kernarg_size 400
		.amdhsa_user_sgpr_count 14
		.amdhsa_user_sgpr_dispatch_ptr 0
		.amdhsa_user_sgpr_queue_ptr 0
		.amdhsa_user_sgpr_kernarg_segment_ptr 1
		.amdhsa_user_sgpr_dispatch_id 0
		.amdhsa_user_sgpr_private_segment_size 0
		.amdhsa_wavefront_size32 1
		.amdhsa_uses_dynamic_stack 0
		.amdhsa_enable_private_segment 0
		.amdhsa_system_sgpr_workgroup_id_x 1
		.amdhsa_system_sgpr_workgroup_id_y 1
		.amdhsa_system_sgpr_workgroup_id_z 0
		.amdhsa_system_sgpr_workgroup_info 0
		.amdhsa_system_vgpr_workitem_id 0
		.amdhsa_next_free_vgpr 78
		.amdhsa_next_free_sgpr 28
		.amdhsa_reserve_vcc 1
		.amdhsa_float_round_mode_32 0
		.amdhsa_float_round_mode_16_64 0
		.amdhsa_float_denorm_mode_32 3
		.amdhsa_float_denorm_mode_16_64 3
		.amdhsa_dx10_clamp 1
		.amdhsa_ieee_mode 1
		.amdhsa_fp16_overflow 0
		.amdhsa_workgroup_processor_mode 1
		.amdhsa_memory_ordered 1
		.amdhsa_forward_progress 0
		.amdhsa_shared_vgpr_count 0
		.amdhsa_exception_fp_ieee_invalid_op 0
		.amdhsa_exception_fp_denorm_src 0
		.amdhsa_exception_fp_ieee_div_zero 0
		.amdhsa_exception_fp_ieee_overflow 0
		.amdhsa_exception_fp_ieee_underflow 0
		.amdhsa_exception_fp_ieee_inexact 0
		.amdhsa_exception_int_div_zero 0
	.end_amdhsa_kernel
	.section	.text._ZN9rocsparseL29bsrmmnn_small_blockdim_kernelILj64ELj8ELj2Ell21rocsparse_complex_numIfES2_S2_S2_EEv20rocsparse_direction_T3_S4_llNS_24const_host_device_scalarIT7_EEPKT2_PKS4_PKT4_PKT5_llS7_PT6_ll16rocsparse_order_21rocsparse_index_base_b,"axG",@progbits,_ZN9rocsparseL29bsrmmnn_small_blockdim_kernelILj64ELj8ELj2Ell21rocsparse_complex_numIfES2_S2_S2_EEv20rocsparse_direction_T3_S4_llNS_24const_host_device_scalarIT7_EEPKT2_PKS4_PKT4_PKT5_llS7_PT6_ll16rocsparse_order_21rocsparse_index_base_b,comdat
.Lfunc_end8:
	.size	_ZN9rocsparseL29bsrmmnn_small_blockdim_kernelILj64ELj8ELj2Ell21rocsparse_complex_numIfES2_S2_S2_EEv20rocsparse_direction_T3_S4_llNS_24const_host_device_scalarIT7_EEPKT2_PKS4_PKT4_PKT5_llS7_PT6_ll16rocsparse_order_21rocsparse_index_base_b, .Lfunc_end8-_ZN9rocsparseL29bsrmmnn_small_blockdim_kernelILj64ELj8ELj2Ell21rocsparse_complex_numIfES2_S2_S2_EEv20rocsparse_direction_T3_S4_llNS_24const_host_device_scalarIT7_EEPKT2_PKS4_PKT4_PKT5_llS7_PT6_ll16rocsparse_order_21rocsparse_index_base_b
                                        ; -- End function
	.section	.AMDGPU.csdata,"",@progbits
; Kernel info:
; codeLenInByte = 2408
; NumSgprs: 30
; NumVgprs: 78
; ScratchSize: 0
; MemoryBound: 0
; FloatMode: 240
; IeeeMode: 1
; LDSByteSize: 2048 bytes/workgroup (compile time only)
; SGPRBlocks: 3
; VGPRBlocks: 9
; NumSGPRsForWavesPerEU: 30
; NumVGPRsForWavesPerEU: 78
; Occupancy: 16
; WaveLimiterHint : 1
; COMPUTE_PGM_RSRC2:SCRATCH_EN: 0
; COMPUTE_PGM_RSRC2:USER_SGPR: 14
; COMPUTE_PGM_RSRC2:TRAP_HANDLER: 0
; COMPUTE_PGM_RSRC2:TGID_X_EN: 1
; COMPUTE_PGM_RSRC2:TGID_Y_EN: 1
; COMPUTE_PGM_RSRC2:TGID_Z_EN: 0
; COMPUTE_PGM_RSRC2:TIDIG_COMP_CNT: 0
	.section	.text._ZN9rocsparseL29bsrmmnn_small_blockdim_kernelILj64ELj8ELj2Eii21rocsparse_complex_numIdES2_S2_S2_EEv20rocsparse_direction_T3_S4_llNS_24const_host_device_scalarIT7_EEPKT2_PKS4_PKT4_PKT5_llS7_PT6_ll16rocsparse_order_21rocsparse_index_base_b,"axG",@progbits,_ZN9rocsparseL29bsrmmnn_small_blockdim_kernelILj64ELj8ELj2Eii21rocsparse_complex_numIdES2_S2_S2_EEv20rocsparse_direction_T3_S4_llNS_24const_host_device_scalarIT7_EEPKT2_PKS4_PKT4_PKT5_llS7_PT6_ll16rocsparse_order_21rocsparse_index_base_b,comdat
	.globl	_ZN9rocsparseL29bsrmmnn_small_blockdim_kernelILj64ELj8ELj2Eii21rocsparse_complex_numIdES2_S2_S2_EEv20rocsparse_direction_T3_S4_llNS_24const_host_device_scalarIT7_EEPKT2_PKS4_PKT4_PKT5_llS7_PT6_ll16rocsparse_order_21rocsparse_index_base_b ; -- Begin function _ZN9rocsparseL29bsrmmnn_small_blockdim_kernelILj64ELj8ELj2Eii21rocsparse_complex_numIdES2_S2_S2_EEv20rocsparse_direction_T3_S4_llNS_24const_host_device_scalarIT7_EEPKT2_PKS4_PKT4_PKT5_llS7_PT6_ll16rocsparse_order_21rocsparse_index_base_b
	.p2align	8
	.type	_ZN9rocsparseL29bsrmmnn_small_blockdim_kernelILj64ELj8ELj2Eii21rocsparse_complex_numIdES2_S2_S2_EEv20rocsparse_direction_T3_S4_llNS_24const_host_device_scalarIT7_EEPKT2_PKS4_PKT4_PKT5_llS7_PT6_ll16rocsparse_order_21rocsparse_index_base_b,@function
_ZN9rocsparseL29bsrmmnn_small_blockdim_kernelILj64ELj8ELj2Eii21rocsparse_complex_numIdES2_S2_S2_EEv20rocsparse_direction_T3_S4_llNS_24const_host_device_scalarIT7_EEPKT2_PKS4_PKT4_PKT5_llS7_PT6_ll16rocsparse_order_21rocsparse_index_base_b: ; @_ZN9rocsparseL29bsrmmnn_small_blockdim_kernelILj64ELj8ELj2Eii21rocsparse_complex_numIdES2_S2_S2_EEv20rocsparse_direction_T3_S4_llNS_24const_host_device_scalarIT7_EEPKT2_PKS4_PKT4_PKT5_llS7_PT6_ll16rocsparse_order_21rocsparse_index_base_b
; %bb.0:
	s_load_b128 s[16:19], s[2:3], 0x88
	s_load_b64 s[12:13], s[0:1], 0x4
	s_load_b128 s[8:11], s[2:3], 0x20
	v_bfe_u32 v2, v0, 10, 10
	s_mov_b64 s[0:1], src_shared_base
	s_load_b128 s[4:7], s[2:3], 0x60
	v_and_b32_e32 v1, 0x3ff, v0
	v_bfe_u32 v0, v0, 20, 10
	s_waitcnt lgkmcnt(0)
	s_bitcmp1_b32 s18, 0
	v_mul_u32_u24_e32 v2, s13, v2
	s_cselect_b32 s0, -1, 0
	v_mov_b32_e32 v10, s10
	s_and_b32 vcc_lo, s0, exec_lo
	s_cselect_b32 s1, s1, s9
	s_lshr_b32 s12, s12, 16
	v_dual_mov_b32 v4, s4 :: v_dual_mov_b32 v5, s5
	s_mul_i32 s12, s12, s13
	v_mov_b32_e32 v7, s1
	v_mad_u32_u24 v2, s12, v1, v2
	v_mov_b32_e32 v11, s11
	scratch_store_b64 off, v[4:5], off
	s_xor_b32 s1, s0, -1
	v_add_lshl_u32 v0, v2, v0, 3
	v_dual_mov_b32 v2, s8 :: v_dual_mov_b32 v3, s9
	s_delay_alu instid0(VALU_DEP_2)
	v_add_nc_u32_e32 v6, 0xd00, v0
	ds_store_b64 v0, v[2:3] offset:3328
	v_cndmask_b32_e64 v6, s8, v6, s0
	flat_load_b64 v[8:9], v[6:7]
	s_cbranch_vccnz .LBB9_2
; %bb.1:
	v_dual_mov_b32 v2, s8 :: v_dual_mov_b32 v3, s9
	flat_load_b64 v[10:11], v[2:3] offset:8
.LBB9_2:
	s_mov_b64 s[8:9], src_private_base
	s_and_b32 s8, s0, exec_lo
	s_cselect_b32 s8, s9, s5
	s_delay_alu instid0(SALU_CYCLE_1) | instskip(SKIP_2) | instid1(VALU_DEP_2)
	v_dual_mov_b32 v0, 0 :: v_dual_mov_b32 v3, s8
	v_dual_mov_b32 v15, s7 :: v_dual_mov_b32 v14, s6
	s_and_not1_b32 vcc_lo, exec_lo, s1
	v_cndmask_b32_e64 v2, s4, v0, s0
	flat_load_b64 v[12:13], v[2:3]
	s_cbranch_vccnz .LBB9_4
; %bb.3:
	v_dual_mov_b32 v2, s4 :: v_dual_mov_b32 v3, s5
	flat_load_b64 v[14:15], v[2:3] offset:8
.LBB9_4:
	s_waitcnt vmcnt(1) lgkmcnt(1)
	v_cmp_eq_f64_e32 vcc_lo, 0, v[8:9]
	v_cmp_eq_f64_e64 s0, 0, v[10:11]
	s_delay_alu instid0(VALU_DEP_1)
	s_and_b32 s4, vcc_lo, s0
	s_mov_b32 s0, -1
	s_and_saveexec_b32 s1, s4
	s_cbranch_execz .LBB9_6
; %bb.5:
	s_waitcnt vmcnt(0) lgkmcnt(0)
	v_cmp_neq_f64_e32 vcc_lo, 1.0, v[12:13]
	v_cmp_neq_f64_e64 s0, 0, v[14:15]
	s_delay_alu instid0(VALU_DEP_1) | instskip(NEXT) | instid1(SALU_CYCLE_1)
	s_or_b32 s0, vcc_lo, s0
	s_or_not1_b32 s0, s0, exec_lo
.LBB9_6:
	s_or_b32 exec_lo, exec_lo, s1
	s_and_saveexec_b32 s1, s0
	s_cbranch_execz .LBB9_29
; %bb.7:
	s_clause 0x1
	s_load_b32 s0, s[2:3], 0x98
	s_load_b128 s[20:23], s[2:3], 0x0
	s_add_u32 s1, s2, 0x98
	s_addc_u32 s5, s3, 0
	v_mov_b32_e32 v17, 0
	s_mov_b32 s12, 0
	s_waitcnt lgkmcnt(0)
	s_cmp_lt_u32 s14, s0
	s_cselect_b32 s4, 12, 18
	s_delay_alu instid0(SALU_CYCLE_1) | instskip(SKIP_4) | instid1(VALU_DEP_1)
	s_add_u32 s4, s1, s4
	s_addc_u32 s5, s5, 0
	global_load_u16 v0, v17, s[4:5]
	s_waitcnt vmcnt(0)
	v_mad_u64_u32 v[2:3], null, s14, v0, v[1:2]
	v_lshrrev_b32_e32 v18, 4, v2
	s_delay_alu instid0(VALU_DEP_1)
	v_cmp_gt_i32_e32 vcc_lo, s21, v18
	s_and_b32 exec_lo, exec_lo, vcc_lo
	s_cbranch_execz .LBB9_29
; %bb.8:
	s_clause 0x1
	s_load_b128 s[24:27], s[2:3], 0x70
	s_load_b64 s[18:19], s[2:3], 0x50
	v_cmp_neq_f64_e32 vcc_lo, 0, v[12:13]
	v_cmp_neq_f64_e64 s1, 0, v[14:15]
	v_and_b32_e32 v32, 7, v2
	v_mul_lo_u32 v3, s0, v0
	v_lshrrev_b32_e32 v16, 3, v2
	v_bfe_u32 v24, v2, 3, 1
	v_lshrrev_b32_e32 v6, 3, v1
	v_mul_u32_u24_e32 v2, 3, v32
	v_lshl_or_b32 v0, s15, 3, v32
	s_load_b256 s[4:11], s[2:3], 0x30
	v_lshrrev_b32_e32 v35, 4, v3
	s_delay_alu instid0(VALU_DEP_3) | instskip(NEXT) | instid1(VALU_DEP_3)
	v_lshlrev_b32_e32 v7, 4, v2
	v_ashrrev_i32_e32 v1, 31, v0
	v_lshl_or_b32 v33, v6, 5, 0xc00
	v_mul_u32_u24_e32 v34, 0x180, v6
	v_cmp_gt_i32_e64 s0, s22, v0
	v_mad_u32_u24 v37, 0x180, v6, v7
	s_waitcnt lgkmcnt(0)
	v_mad_u64_u32 v[2:3], null, v16, s26, 0
	v_lshlrev_b64 v[4:5], 4, v[0:1]
	v_mul_lo_u32 v23, v1, s18
	v_mul_lo_u32 v25, v0, s19
	v_mad_u64_u32 v[6:7], null, v0, s18, 0
	v_mul_lo_u32 v26, v1, s26
	v_mov_b32_e32 v1, v3
	v_mul_lo_u32 v27, v0, s27
	v_mad_u64_u32 v[19:20], null, v0, s26, 0
	v_add_co_u32 v4, s2, s24, v4
	s_delay_alu instid0(VALU_DEP_4) | instskip(SKIP_4) | instid1(VALU_DEP_4)
	v_mad_u64_u32 v[21:22], null, v16, s27, v[1:2]
	v_add3_u32 v7, v7, v25, v23
	v_add_co_ci_u32_e64 v5, s2, s25, v5, s2
	v_add3_u32 v20, v20, v27, v26
	v_lshl_or_b32 v36, v32, 2, v33
	v_lshlrev_b64 v[0:1], 4, v[6:7]
	v_mov_b32_e32 v3, v21
	s_or_b32 s1, vcc_lo, s1
	s_cmp_lg_u32 s16, 1
	v_subrev_nc_u32_e32 v41, s17, v32
	s_cselect_b32 s2, -1, 0
	v_lshlrev_b64 v[2:3], 4, v[2:3]
	v_add_co_u32 v38, vcc_lo, s10, v0
	v_add_co_ci_u32_e32 v39, vcc_lo, s11, v1, vcc_lo
	v_lshlrev_b64 v[0:1], 4, v[19:20]
	s_delay_alu instid0(VALU_DEP_4) | instskip(SKIP_3) | instid1(VALU_DEP_4)
	v_add_co_u32 v20, vcc_lo, v4, v2
	s_cmp_eq_u32 s20, 0
	v_add_co_ci_u32_e32 v21, vcc_lo, v5, v3, vcc_lo
	v_lshlrev_b64 v[2:3], 4, v[16:17]
	v_add_co_u32 v0, vcc_lo, s24, v0
	s_cselect_b32 s3, -1, 0
	v_add_co_ci_u32_e32 v1, vcc_lo, s25, v1, vcc_lo
	v_cndmask_b32_e64 v4, 0, 1, s3
	s_delay_alu instid0(VALU_DEP_3) | instskip(NEXT) | instid1(VALU_DEP_3)
	v_add_co_u32 v22, vcc_lo, v0, v2
	v_add_co_ci_u32_e32 v23, vcc_lo, v1, v3, vcc_lo
	s_delay_alu instid0(VALU_DEP_3)
	v_lshlrev_b32_e32 v40, v4, v24
	s_and_b32 s3, s3, exec_lo
	s_cselect_b32 s3, 1, 2
	s_branch .LBB9_10
.LBB9_9:                                ;   in Loop: Header=BB9_10 Depth=1
	s_or_b32 exec_lo, exec_lo, s10
	v_add_nc_u32_e32 v18, v18, v35
	s_delay_alu instid0(VALU_DEP_1) | instskip(SKIP_1) | instid1(SALU_CYCLE_1)
	v_cmp_le_i32_e32 vcc_lo, s21, v18
	s_or_b32 s12, vcc_lo, s12
	s_and_not1_b32 exec_lo, exec_lo, s12
	s_cbranch_execz .LBB9_29
.LBB9_10:                               ; =>This Loop Header: Depth=1
                                        ;     Child Loop BB9_13 Depth 2
	v_dual_mov_b32 v19, v17 :: v_dual_mov_b32 v26, 0
	v_mov_b32_e32 v27, 0
	s_mov_b32 s10, exec_lo
	s_delay_alu instid0(VALU_DEP_2) | instskip(NEXT) | instid1(VALU_DEP_2)
	v_lshlrev_b64 v[0:1], 2, v[18:19]
	v_dual_mov_b32 v29, v27 :: v_dual_mov_b32 v28, v26
	s_delay_alu instid0(VALU_DEP_2) | instskip(NEXT) | instid1(VALU_DEP_3)
	v_add_co_u32 v0, vcc_lo, s4, v0
	v_add_co_ci_u32_e32 v1, vcc_lo, s5, v1, vcc_lo
	global_load_b64 v[0:1], v[0:1], off
	s_waitcnt vmcnt(0)
	v_cmpx_lt_i32_e64 v0, v1
	s_cbranch_execz .LBB9_18
; %bb.11:                               ;   in Loop: Header=BB9_10 Depth=1
	v_mov_b32_e32 v24, 0
	v_dual_mov_b32 v25, 0 :: v_dual_add_nc_u32 v2, v41, v0
	v_subrev_nc_u32_e32 v19, s17, v1
	v_subrev_nc_u32_e32 v42, s17, v0
	s_mov_b32 s11, 0
	s_delay_alu instid0(VALU_DEP_3)
	v_dual_mov_b32 v27, v25 :: v_dual_mov_b32 v26, v24
	v_lshl_or_b32 v16, v2, 2, v40
	v_dual_mov_b32 v29, v25 :: v_dual_mov_b32 v28, v24
	s_branch .LBB9_13
.LBB9_12:                               ;   in Loop: Header=BB9_13 Depth=2
	s_or_b32 exec_lo, exec_lo, s13
	v_add_nc_u32_e32 v42, 8, v42
	v_add_nc_u32_e32 v16, 32, v16
	s_delay_alu instid0(VALU_DEP_2) | instskip(SKIP_1) | instid1(SALU_CYCLE_1)
	v_cmp_ge_i32_e32 vcc_lo, v42, v19
	s_or_b32 s11, vcc_lo, s11
	s_and_not1_b32 exec_lo, exec_lo, s11
	s_cbranch_execz .LBB9_17
.LBB9_13:                               ;   Parent Loop BB9_10 Depth=1
                                        ; =>  This Inner Loop Header: Depth=2
	v_dual_mov_b32 v31, 0 :: v_dual_add_nc_u32 v30, v32, v42
	v_dual_mov_b32 v4, v24 :: v_dual_mov_b32 v5, v25
	v_dual_mov_b32 v6, v24 :: v_dual_mov_b32 v7, v25
	;; [unrolled: 1-line block ×4, first 2 shown]
	s_mov_b32 s13, exec_lo
	v_cmpx_lt_i32_e64 v30, v19
	s_cbranch_execz .LBB9_15
; %bb.14:                               ;   in Loop: Header=BB9_13 Depth=2
	v_ashrrev_i32_e32 v31, 31, v30
	v_dual_mov_b32 v3, v17 :: v_dual_add_nc_u32 v2, s3, v16
	v_lshlrev_b64 v[4:5], 4, v[16:17]
	s_delay_alu instid0(VALU_DEP_3) | instskip(NEXT) | instid1(VALU_DEP_3)
	v_lshlrev_b64 v[0:1], 2, v[30:31]
	v_lshlrev_b64 v[2:3], 4, v[2:3]
	s_delay_alu instid0(VALU_DEP_2) | instskip(NEXT) | instid1(VALU_DEP_3)
	v_add_co_u32 v0, vcc_lo, s6, v0
	v_add_co_ci_u32_e32 v1, vcc_lo, s7, v1, vcc_lo
	global_load_b32 v30, v[0:1], off
	v_add_co_u32 v0, vcc_lo, s8, v4
	v_add_co_ci_u32_e32 v1, vcc_lo, s9, v5, vcc_lo
	v_add_co_u32 v2, vcc_lo, s8, v2
	v_add_co_ci_u32_e32 v3, vcc_lo, s9, v3, vcc_lo
	s_clause 0x1
	global_load_b128 v[4:7], v[0:1], off
	global_load_b128 v[0:3], v[2:3], off
	s_waitcnt vmcnt(2)
	v_subrev_nc_u32_e32 v30, s17, v30
	s_delay_alu instid0(VALU_DEP_1)
	v_lshlrev_b32_e32 v31, 1, v30
.LBB9_15:                               ;   in Loop: Header=BB9_13 Depth=2
	s_or_b32 exec_lo, exec_lo, s13
	ds_store_b32 v36, v31
	s_waitcnt vmcnt(1)
	ds_store_b128 v37, v[4:7]
	s_waitcnt vmcnt(0)
	ds_store_b128 v37, v[0:3] offset:16
	s_waitcnt lgkmcnt(0)
	s_waitcnt_vscnt null, 0x0
	s_barrier
	buffer_gl0_inv
	s_and_saveexec_b32 s13, s0
	s_cbranch_execz .LBB9_12
; %bb.16:                               ;   in Loop: Header=BB9_13 Depth=2
	ds_load_b128 v[0:3], v33
	ds_load_b128 v[4:7], v33 offset:16
	s_waitcnt lgkmcnt(1)
	v_ashrrev_i32_e32 v31, 31, v0
	v_mov_b32_e32 v30, v0
	s_delay_alu instid0(VALU_DEP_1) | instskip(NEXT) | instid1(VALU_DEP_1)
	v_lshlrev_b64 v[30:31], 4, v[30:31]
	v_add_co_u32 v30, vcc_lo, v38, v30
	s_delay_alu instid0(VALU_DEP_2)
	v_add_co_ci_u32_e32 v31, vcc_lo, v39, v31, vcc_lo
	s_clause 0x1
	global_load_b128 v[43:46], v[30:31], off
	global_load_b128 v[47:50], v[30:31], off offset:16
	v_ashrrev_i32_e32 v31, 31, v1
	v_mov_b32_e32 v30, v1
	s_delay_alu instid0(VALU_DEP_1) | instskip(NEXT) | instid1(VALU_DEP_1)
	v_lshlrev_b64 v[0:1], 4, v[30:31]
	v_add_co_u32 v0, vcc_lo, v38, v0
	s_delay_alu instid0(VALU_DEP_2)
	v_add_co_ci_u32_e32 v1, vcc_lo, v39, v1, vcc_lo
	s_clause 0x1
	global_load_b128 v[51:54], v[0:1], off
	global_load_b128 v[55:58], v[0:1], off offset:16
	v_ashrrev_i32_e32 v1, 31, v2
	v_mov_b32_e32 v0, v2
	ds_load_b128 v[59:62], v34
	ds_load_b128 v[67:70], v34 offset:16
	v_lshlrev_b64 v[0:1], 4, v[0:1]
	s_delay_alu instid0(VALU_DEP_1) | instskip(NEXT) | instid1(VALU_DEP_2)
	v_add_co_u32 v0, vcc_lo, v38, v0
	v_add_co_ci_u32_e32 v1, vcc_lo, v39, v1, vcc_lo
	global_load_b128 v[63:66], v[0:1], off
	s_waitcnt vmcnt(4) lgkmcnt(1)
	v_fma_f64 v[28:29], v[59:60], v[43:44], v[28:29]
	v_fma_f64 v[26:27], v[61:62], v[43:44], v[26:27]
	s_delay_alu instid0(VALU_DEP_2) | instskip(NEXT) | instid1(VALU_DEP_2)
	v_fma_f64 v[30:31], -v[61:62], v[45:46], v[28:29]
	v_fma_f64 v[43:44], v[59:60], v[45:46], v[26:27]
	global_load_b128 v[26:29], v[0:1], off offset:16
	s_waitcnt vmcnt(4) lgkmcnt(0)
	v_fma_f64 v[0:1], v[67:68], v[47:48], v[30:31]
	v_fma_f64 v[30:31], v[69:70], v[47:48], v[43:44]
	s_delay_alu instid0(VALU_DEP_2) | instskip(NEXT) | instid1(VALU_DEP_2)
	v_fma_f64 v[59:60], -v[69:70], v[49:50], v[0:1]
	v_fma_f64 v[30:31], v[67:68], v[49:50], v[30:31]
	v_ashrrev_i32_e32 v1, 31, v3
	v_mov_b32_e32 v0, v3
	ds_load_b128 v[47:50], v34 offset:64
	v_lshlrev_b64 v[0:1], 4, v[0:1]
	s_delay_alu instid0(VALU_DEP_1) | instskip(NEXT) | instid1(VALU_DEP_2)
	v_add_co_u32 v61, vcc_lo, v38, v0
	v_add_co_ci_u32_e32 v62, vcc_lo, v39, v1, vcc_lo
	ds_load_b128 v[0:3], v34 offset:48
	global_load_b128 v[43:46], v[61:62], off
	s_waitcnt vmcnt(4) lgkmcnt(0)
	v_fma_f64 v[59:60], v[0:1], v[51:52], v[59:60]
	v_fma_f64 v[30:31], v[2:3], v[51:52], v[30:31]
	s_delay_alu instid0(VALU_DEP_2) | instskip(NEXT) | instid1(VALU_DEP_2)
	v_fma_f64 v[51:52], -v[2:3], v[53:54], v[59:60]
	v_fma_f64 v[30:31], v[0:1], v[53:54], v[30:31]
	global_load_b128 v[0:3], v[61:62], off offset:16
	s_waitcnt vmcnt(4)
	v_fma_f64 v[51:52], v[47:48], v[55:56], v[51:52]
	v_fma_f64 v[30:31], v[49:50], v[55:56], v[30:31]
	s_delay_alu instid0(VALU_DEP_2) | instskip(NEXT) | instid1(VALU_DEP_2)
	v_fma_f64 v[59:60], -v[49:50], v[57:58], v[51:52]
	v_fma_f64 v[30:31], v[47:48], v[57:58], v[30:31]
	v_ashrrev_i32_e32 v48, 31, v4
	v_mov_b32_e32 v47, v4
	ds_load_b128 v[55:58], v34 offset:112
	v_lshlrev_b64 v[47:48], 4, v[47:48]
	s_delay_alu instid0(VALU_DEP_1) | instskip(NEXT) | instid1(VALU_DEP_2)
	v_add_co_u32 v61, vcc_lo, v38, v47
	v_add_co_ci_u32_e32 v62, vcc_lo, v39, v48, vcc_lo
	ds_load_b128 v[47:50], v34 offset:96
	global_load_b128 v[51:54], v[61:62], off
	s_waitcnt vmcnt(4) lgkmcnt(0)
	v_fma_f64 v[59:60], v[47:48], v[63:64], v[59:60]
	v_fma_f64 v[30:31], v[49:50], v[63:64], v[30:31]
	s_delay_alu instid0(VALU_DEP_2) | instskip(NEXT) | instid1(VALU_DEP_2)
	v_fma_f64 v[59:60], -v[49:50], v[65:66], v[59:60]
	v_fma_f64 v[30:31], v[47:48], v[65:66], v[30:31]
	global_load_b128 v[47:50], v[61:62], off offset:16
	s_waitcnt vmcnt(4)
	v_fma_f64 v[59:60], v[55:56], v[26:27], v[59:60]
	v_fma_f64 v[26:27], v[57:58], v[26:27], v[30:31]
	s_delay_alu instid0(VALU_DEP_2) | instskip(NEXT) | instid1(VALU_DEP_2)
	v_fma_f64 v[30:31], -v[57:58], v[28:29], v[59:60]
	v_fma_f64 v[63:64], v[55:56], v[28:29], v[26:27]
	v_ashrrev_i32_e32 v27, 31, v5
	v_mov_b32_e32 v26, v5
	ds_load_b128 v[59:62], v34 offset:160
	v_lshlrev_b64 v[4:5], 4, v[26:27]
	ds_load_b128 v[26:29], v34 offset:144
	v_add_co_u32 v4, vcc_lo, v38, v4
	v_add_co_ci_u32_e32 v5, vcc_lo, v39, v5, vcc_lo
	global_load_b128 v[55:58], v[4:5], off
	s_waitcnt vmcnt(4) lgkmcnt(0)
	v_fma_f64 v[30:31], v[26:27], v[43:44], v[30:31]
	v_fma_f64 v[43:44], v[28:29], v[43:44], v[63:64]
	s_delay_alu instid0(VALU_DEP_2) | instskip(NEXT) | instid1(VALU_DEP_2)
	v_fma_f64 v[30:31], -v[28:29], v[45:46], v[30:31]
	v_fma_f64 v[43:44], v[26:27], v[45:46], v[43:44]
	global_load_b128 v[26:29], v[4:5], off offset:16
	s_waitcnt vmcnt(4)
	v_fma_f64 v[4:5], v[59:60], v[0:1], v[30:31]
	v_fma_f64 v[0:1], v[61:62], v[0:1], v[43:44]
	s_delay_alu instid0(VALU_DEP_2) | instskip(NEXT) | instid1(VALU_DEP_2)
	v_fma_f64 v[4:5], -v[61:62], v[2:3], v[4:5]
	v_fma_f64 v[30:31], v[59:60], v[2:3], v[0:1]
	v_ashrrev_i32_e32 v1, 31, v6
	v_mov_b32_e32 v0, v6
	ds_load_b128 v[59:62], v34 offset:208
	v_lshlrev_b64 v[0:1], 4, v[0:1]
	s_delay_alu instid0(VALU_DEP_1) | instskip(NEXT) | instid1(VALU_DEP_2)
	v_add_co_u32 v63, vcc_lo, v38, v0
	v_add_co_ci_u32_e32 v64, vcc_lo, v39, v1, vcc_lo
	ds_load_b128 v[0:3], v34 offset:192
	global_load_b128 v[43:46], v[63:64], off
	s_waitcnt vmcnt(4) lgkmcnt(0)
	v_fma_f64 v[4:5], v[0:1], v[51:52], v[4:5]
	v_fma_f64 v[30:31], v[2:3], v[51:52], v[30:31]
	s_delay_alu instid0(VALU_DEP_2) | instskip(NEXT) | instid1(VALU_DEP_2)
	v_fma_f64 v[4:5], -v[2:3], v[53:54], v[4:5]
	v_fma_f64 v[30:31], v[0:1], v[53:54], v[30:31]
	global_load_b128 v[0:3], v[63:64], off offset:16
	ds_load_b128 v[51:54], v34 offset:256
	s_waitcnt vmcnt(4)
	v_fma_f64 v[4:5], v[59:60], v[47:48], v[4:5]
	v_fma_f64 v[30:31], v[61:62], v[47:48], v[30:31]
	s_delay_alu instid0(VALU_DEP_2) | instskip(NEXT) | instid1(VALU_DEP_2)
	v_fma_f64 v[61:62], -v[61:62], v[49:50], v[4:5]
	v_fma_f64 v[30:31], v[59:60], v[49:50], v[30:31]
	v_ashrrev_i32_e32 v5, 31, v7
	v_mov_b32_e32 v4, v7
	s_delay_alu instid0(VALU_DEP_1) | instskip(NEXT) | instid1(VALU_DEP_1)
	v_lshlrev_b64 v[4:5], 4, v[4:5]
	v_add_co_u32 v59, vcc_lo, v38, v4
	s_delay_alu instid0(VALU_DEP_2)
	v_add_co_ci_u32_e32 v60, vcc_lo, v39, v5, vcc_lo
	ds_load_b128 v[4:7], v34 offset:240
	global_load_b128 v[47:50], v[59:60], off
	s_waitcnt vmcnt(4) lgkmcnt(0)
	v_fma_f64 v[61:62], v[4:5], v[55:56], v[61:62]
	v_fma_f64 v[30:31], v[6:7], v[55:56], v[30:31]
	s_delay_alu instid0(VALU_DEP_2) | instskip(NEXT) | instid1(VALU_DEP_2)
	v_fma_f64 v[55:56], -v[6:7], v[57:58], v[61:62]
	v_fma_f64 v[30:31], v[4:5], v[57:58], v[30:31]
	global_load_b128 v[4:7], v[59:60], off offset:16
	s_waitcnt vmcnt(4)
	v_fma_f64 v[55:56], v[51:52], v[26:27], v[55:56]
	v_fma_f64 v[26:27], v[53:54], v[26:27], v[30:31]
	s_delay_alu instid0(VALU_DEP_2) | instskip(NEXT) | instid1(VALU_DEP_2)
	v_fma_f64 v[30:31], -v[53:54], v[28:29], v[55:56]
	v_fma_f64 v[55:56], v[51:52], v[28:29], v[26:27]
	ds_load_b128 v[26:29], v34 offset:288
	ds_load_b128 v[51:54], v34 offset:304
	s_waitcnt vmcnt(3) lgkmcnt(1)
	v_fma_f64 v[30:31], v[26:27], v[43:44], v[30:31]
	v_fma_f64 v[43:44], v[28:29], v[43:44], v[55:56]
	s_delay_alu instid0(VALU_DEP_2) | instskip(NEXT) | instid1(VALU_DEP_2)
	v_fma_f64 v[28:29], -v[28:29], v[45:46], v[30:31]
	v_fma_f64 v[26:27], v[26:27], v[45:46], v[43:44]
	s_waitcnt vmcnt(2) lgkmcnt(0)
	s_delay_alu instid0(VALU_DEP_2) | instskip(NEXT) | instid1(VALU_DEP_2)
	v_fma_f64 v[28:29], v[51:52], v[0:1], v[28:29]
	v_fma_f64 v[0:1], v[53:54], v[0:1], v[26:27]
	s_delay_alu instid0(VALU_DEP_2) | instskip(NEXT) | instid1(VALU_DEP_2)
	v_fma_f64 v[30:31], -v[53:54], v[2:3], v[28:29]
	v_fma_f64 v[43:44], v[51:52], v[2:3], v[0:1]
	ds_load_b128 v[0:3], v34 offset:336
	ds_load_b128 v[26:29], v34 offset:352
	s_waitcnt vmcnt(1) lgkmcnt(1)
	v_fma_f64 v[30:31], v[0:1], v[47:48], v[30:31]
	v_fma_f64 v[43:44], v[2:3], v[47:48], v[43:44]
	s_delay_alu instid0(VALU_DEP_2) | instskip(NEXT) | instid1(VALU_DEP_2)
	v_fma_f64 v[2:3], -v[2:3], v[49:50], v[30:31]
	v_fma_f64 v[0:1], v[0:1], v[49:50], v[43:44]
	s_waitcnt vmcnt(0) lgkmcnt(0)
	s_delay_alu instid0(VALU_DEP_2) | instskip(NEXT) | instid1(VALU_DEP_2)
	v_fma_f64 v[2:3], v[26:27], v[4:5], v[2:3]
	v_fma_f64 v[0:1], v[28:29], v[4:5], v[0:1]
	s_delay_alu instid0(VALU_DEP_2) | instskip(NEXT) | instid1(VALU_DEP_2)
	v_fma_f64 v[28:29], -v[28:29], v[6:7], v[2:3]
	v_fma_f64 v[26:27], v[26:27], v[6:7], v[0:1]
	s_branch .LBB9_12
.LBB9_17:                               ;   in Loop: Header=BB9_10 Depth=1
	s_or_b32 exec_lo, exec_lo, s11
.LBB9_18:                               ;   in Loop: Header=BB9_10 Depth=1
	s_delay_alu instid0(SALU_CYCLE_1)
	s_or_b32 exec_lo, exec_lo, s10
	s_and_saveexec_b32 s10, s0
	s_cbranch_execz .LBB9_9
; %bb.19:                               ;   in Loop: Header=BB9_10 Depth=1
	s_delay_alu instid0(VALU_DEP_4) | instskip(SKIP_1) | instid1(VALU_DEP_2)
	v_mul_f64 v[0:1], v[26:27], -v[10:11]
	v_mul_f64 v[2:3], v[8:9], v[26:27]
	v_fma_f64 v[0:1], v[8:9], v[28:29], v[0:1]
	s_delay_alu instid0(VALU_DEP_2) | instskip(SKIP_1) | instid1(SALU_CYCLE_1)
	v_fma_f64 v[2:3], v[10:11], v[28:29], v[2:3]
	s_and_saveexec_b32 s11, s1
	s_xor_b32 s11, exec_lo, s11
	s_cbranch_execz .LBB9_24
; %bb.20:                               ;   in Loop: Header=BB9_10 Depth=1
	s_and_b32 vcc_lo, exec_lo, s2
	s_mov_b32 s13, -1
	s_cbranch_vccz .LBB9_22
; %bb.21:                               ;   in Loop: Header=BB9_10 Depth=1
	global_load_b128 v[4:7], v[20:21], off
	s_mov_b32 s13, 0
	s_waitcnt vmcnt(0)
	v_fma_f64 v[24:25], v[12:13], v[4:5], v[0:1]
	v_fma_f64 v[26:27], v[14:15], v[4:5], v[2:3]
	s_delay_alu instid0(VALU_DEP_2) | instskip(NEXT) | instid1(VALU_DEP_2)
	v_fma_f64 v[4:5], -v[14:15], v[6:7], v[24:25]
	v_fma_f64 v[6:7], v[12:13], v[6:7], v[26:27]
	global_store_b128 v[20:21], v[4:7], off
.LBB9_22:                               ;   in Loop: Header=BB9_10 Depth=1
	s_and_not1_b32 vcc_lo, exec_lo, s13
	s_cbranch_vccnz .LBB9_24
; %bb.23:                               ;   in Loop: Header=BB9_10 Depth=1
	global_load_b128 v[4:7], v[22:23], off
	s_waitcnt vmcnt(0)
	v_fma_f64 v[0:1], v[12:13], v[4:5], v[0:1]
	v_fma_f64 v[2:3], v[14:15], v[4:5], v[2:3]
	s_delay_alu instid0(VALU_DEP_2) | instskip(NEXT) | instid1(VALU_DEP_2)
	v_fma_f64 v[0:1], -v[14:15], v[6:7], v[0:1]
	v_fma_f64 v[2:3], v[12:13], v[6:7], v[2:3]
	global_store_b128 v[22:23], v[0:3], off
                                        ; implicit-def: $vgpr0_vgpr1
.LBB9_24:                               ;   in Loop: Header=BB9_10 Depth=1
	s_and_not1_saveexec_b32 s11, s11
	s_cbranch_execz .LBB9_9
; %bb.25:                               ;   in Loop: Header=BB9_10 Depth=1
	s_and_b32 vcc_lo, exec_lo, s2
	s_mov_b32 s11, -1
	s_cbranch_vccz .LBB9_27
; %bb.26:                               ;   in Loop: Header=BB9_10 Depth=1
	s_mov_b32 s11, 0
	global_store_b128 v[20:21], v[0:3], off
.LBB9_27:                               ;   in Loop: Header=BB9_10 Depth=1
	s_and_not1_b32 vcc_lo, exec_lo, s11
	s_cbranch_vccnz .LBB9_9
; %bb.28:                               ;   in Loop: Header=BB9_10 Depth=1
	global_store_b128 v[22:23], v[0:3], off
	s_branch .LBB9_9
.LBB9_29:
	s_endpgm
	.section	.rodata,"a",@progbits
	.p2align	6, 0x0
	.amdhsa_kernel _ZN9rocsparseL29bsrmmnn_small_blockdim_kernelILj64ELj8ELj2Eii21rocsparse_complex_numIdES2_S2_S2_EEv20rocsparse_direction_T3_S4_llNS_24const_host_device_scalarIT7_EEPKT2_PKS4_PKT4_PKT5_llS7_PT6_ll16rocsparse_order_21rocsparse_index_base_b
		.amdhsa_group_segment_fixed_size 3840
		.amdhsa_private_segment_fixed_size 16
		.amdhsa_kernarg_size 408
		.amdhsa_user_sgpr_count 14
		.amdhsa_user_sgpr_dispatch_ptr 1
		.amdhsa_user_sgpr_queue_ptr 0
		.amdhsa_user_sgpr_kernarg_segment_ptr 1
		.amdhsa_user_sgpr_dispatch_id 0
		.amdhsa_user_sgpr_private_segment_size 0
		.amdhsa_wavefront_size32 1
		.amdhsa_uses_dynamic_stack 0
		.amdhsa_enable_private_segment 1
		.amdhsa_system_sgpr_workgroup_id_x 1
		.amdhsa_system_sgpr_workgroup_id_y 1
		.amdhsa_system_sgpr_workgroup_id_z 0
		.amdhsa_system_sgpr_workgroup_info 0
		.amdhsa_system_vgpr_workitem_id 2
		.amdhsa_next_free_vgpr 71
		.amdhsa_next_free_sgpr 28
		.amdhsa_reserve_vcc 1
		.amdhsa_float_round_mode_32 0
		.amdhsa_float_round_mode_16_64 0
		.amdhsa_float_denorm_mode_32 3
		.amdhsa_float_denorm_mode_16_64 3
		.amdhsa_dx10_clamp 1
		.amdhsa_ieee_mode 1
		.amdhsa_fp16_overflow 0
		.amdhsa_workgroup_processor_mode 1
		.amdhsa_memory_ordered 1
		.amdhsa_forward_progress 0
		.amdhsa_shared_vgpr_count 0
		.amdhsa_exception_fp_ieee_invalid_op 0
		.amdhsa_exception_fp_denorm_src 0
		.amdhsa_exception_fp_ieee_div_zero 0
		.amdhsa_exception_fp_ieee_overflow 0
		.amdhsa_exception_fp_ieee_underflow 0
		.amdhsa_exception_fp_ieee_inexact 0
		.amdhsa_exception_int_div_zero 0
	.end_amdhsa_kernel
	.section	.text._ZN9rocsparseL29bsrmmnn_small_blockdim_kernelILj64ELj8ELj2Eii21rocsparse_complex_numIdES2_S2_S2_EEv20rocsparse_direction_T3_S4_llNS_24const_host_device_scalarIT7_EEPKT2_PKS4_PKT4_PKT5_llS7_PT6_ll16rocsparse_order_21rocsparse_index_base_b,"axG",@progbits,_ZN9rocsparseL29bsrmmnn_small_blockdim_kernelILj64ELj8ELj2Eii21rocsparse_complex_numIdES2_S2_S2_EEv20rocsparse_direction_T3_S4_llNS_24const_host_device_scalarIT7_EEPKT2_PKS4_PKT4_PKT5_llS7_PT6_ll16rocsparse_order_21rocsparse_index_base_b,comdat
.Lfunc_end9:
	.size	_ZN9rocsparseL29bsrmmnn_small_blockdim_kernelILj64ELj8ELj2Eii21rocsparse_complex_numIdES2_S2_S2_EEv20rocsparse_direction_T3_S4_llNS_24const_host_device_scalarIT7_EEPKT2_PKS4_PKT4_PKT5_llS7_PT6_ll16rocsparse_order_21rocsparse_index_base_b, .Lfunc_end9-_ZN9rocsparseL29bsrmmnn_small_blockdim_kernelILj64ELj8ELj2Eii21rocsparse_complex_numIdES2_S2_S2_EEv20rocsparse_direction_T3_S4_llNS_24const_host_device_scalarIT7_EEPKT2_PKS4_PKT4_PKT5_llS7_PT6_ll16rocsparse_order_21rocsparse_index_base_b
                                        ; -- End function
	.section	.AMDGPU.csdata,"",@progbits
; Kernel info:
; codeLenInByte = 2760
; NumSgprs: 30
; NumVgprs: 71
; ScratchSize: 16
; MemoryBound: 1
; FloatMode: 240
; IeeeMode: 1
; LDSByteSize: 3840 bytes/workgroup (compile time only)
; SGPRBlocks: 3
; VGPRBlocks: 8
; NumSGPRsForWavesPerEU: 30
; NumVGPRsForWavesPerEU: 71
; Occupancy: 16
; WaveLimiterHint : 0
; COMPUTE_PGM_RSRC2:SCRATCH_EN: 1
; COMPUTE_PGM_RSRC2:USER_SGPR: 14
; COMPUTE_PGM_RSRC2:TRAP_HANDLER: 0
; COMPUTE_PGM_RSRC2:TGID_X_EN: 1
; COMPUTE_PGM_RSRC2:TGID_Y_EN: 1
; COMPUTE_PGM_RSRC2:TGID_Z_EN: 0
; COMPUTE_PGM_RSRC2:TIDIG_COMP_CNT: 2
	.section	.text._ZN9rocsparseL29bsrmmnn_small_blockdim_kernelILj64ELj8ELj2Eli21rocsparse_complex_numIdES2_S2_S2_EEv20rocsparse_direction_T3_S4_llNS_24const_host_device_scalarIT7_EEPKT2_PKS4_PKT4_PKT5_llS7_PT6_ll16rocsparse_order_21rocsparse_index_base_b,"axG",@progbits,_ZN9rocsparseL29bsrmmnn_small_blockdim_kernelILj64ELj8ELj2Eli21rocsparse_complex_numIdES2_S2_S2_EEv20rocsparse_direction_T3_S4_llNS_24const_host_device_scalarIT7_EEPKT2_PKS4_PKT4_PKT5_llS7_PT6_ll16rocsparse_order_21rocsparse_index_base_b,comdat
	.globl	_ZN9rocsparseL29bsrmmnn_small_blockdim_kernelILj64ELj8ELj2Eli21rocsparse_complex_numIdES2_S2_S2_EEv20rocsparse_direction_T3_S4_llNS_24const_host_device_scalarIT7_EEPKT2_PKS4_PKT4_PKT5_llS7_PT6_ll16rocsparse_order_21rocsparse_index_base_b ; -- Begin function _ZN9rocsparseL29bsrmmnn_small_blockdim_kernelILj64ELj8ELj2Eli21rocsparse_complex_numIdES2_S2_S2_EEv20rocsparse_direction_T3_S4_llNS_24const_host_device_scalarIT7_EEPKT2_PKS4_PKT4_PKT5_llS7_PT6_ll16rocsparse_order_21rocsparse_index_base_b
	.p2align	8
	.type	_ZN9rocsparseL29bsrmmnn_small_blockdim_kernelILj64ELj8ELj2Eli21rocsparse_complex_numIdES2_S2_S2_EEv20rocsparse_direction_T3_S4_llNS_24const_host_device_scalarIT7_EEPKT2_PKS4_PKT4_PKT5_llS7_PT6_ll16rocsparse_order_21rocsparse_index_base_b,@function
_ZN9rocsparseL29bsrmmnn_small_blockdim_kernelILj64ELj8ELj2Eli21rocsparse_complex_numIdES2_S2_S2_EEv20rocsparse_direction_T3_S4_llNS_24const_host_device_scalarIT7_EEPKT2_PKS4_PKT4_PKT5_llS7_PT6_ll16rocsparse_order_21rocsparse_index_base_b: ; @_ZN9rocsparseL29bsrmmnn_small_blockdim_kernelILj64ELj8ELj2Eli21rocsparse_complex_numIdES2_S2_S2_EEv20rocsparse_direction_T3_S4_llNS_24const_host_device_scalarIT7_EEPKT2_PKS4_PKT4_PKT5_llS7_PT6_ll16rocsparse_order_21rocsparse_index_base_b
; %bb.0:
	s_load_b128 s[16:19], s[2:3], 0x88
	s_load_b64 s[12:13], s[0:1], 0x4
	s_load_b128 s[8:11], s[2:3], 0x20
	v_bfe_u32 v2, v0, 10, 10
	s_mov_b64 s[0:1], src_shared_base
	s_load_b128 s[4:7], s[2:3], 0x60
	v_and_b32_e32 v1, 0x3ff, v0
	v_bfe_u32 v0, v0, 20, 10
	s_waitcnt lgkmcnt(0)
	s_bitcmp1_b32 s18, 0
	v_mul_u32_u24_e32 v2, s13, v2
	s_cselect_b32 s0, -1, 0
	v_mov_b32_e32 v10, s10
	s_and_b32 vcc_lo, s0, exec_lo
	s_cselect_b32 s1, s1, s9
	s_lshr_b32 s12, s12, 16
	v_dual_mov_b32 v4, s4 :: v_dual_mov_b32 v5, s5
	s_mul_i32 s12, s12, s13
	v_mov_b32_e32 v7, s1
	v_mad_u32_u24 v2, s12, v1, v2
	v_mov_b32_e32 v11, s11
	scratch_store_b64 off, v[4:5], off
	s_xor_b32 s1, s0, -1
	v_add_lshl_u32 v0, v2, v0, 3
	v_dual_mov_b32 v2, s8 :: v_dual_mov_b32 v3, s9
	s_delay_alu instid0(VALU_DEP_2)
	v_add_nc_u32_e32 v6, 0xd00, v0
	ds_store_b64 v0, v[2:3] offset:3328
	v_cndmask_b32_e64 v6, s8, v6, s0
	flat_load_b64 v[8:9], v[6:7]
	s_cbranch_vccnz .LBB10_2
; %bb.1:
	v_dual_mov_b32 v2, s8 :: v_dual_mov_b32 v3, s9
	flat_load_b64 v[10:11], v[2:3] offset:8
.LBB10_2:
	s_mov_b64 s[8:9], src_private_base
	s_and_b32 s8, s0, exec_lo
	s_cselect_b32 s8, s9, s5
	s_delay_alu instid0(SALU_CYCLE_1) | instskip(SKIP_2) | instid1(VALU_DEP_2)
	v_dual_mov_b32 v0, 0 :: v_dual_mov_b32 v3, s8
	v_dual_mov_b32 v15, s7 :: v_dual_mov_b32 v14, s6
	s_and_not1_b32 vcc_lo, exec_lo, s1
	v_cndmask_b32_e64 v2, s4, v0, s0
	flat_load_b64 v[12:13], v[2:3]
	s_cbranch_vccnz .LBB10_4
; %bb.3:
	v_dual_mov_b32 v2, s4 :: v_dual_mov_b32 v3, s5
	flat_load_b64 v[14:15], v[2:3] offset:8
.LBB10_4:
	s_waitcnt vmcnt(1) lgkmcnt(1)
	v_cmp_eq_f64_e32 vcc_lo, 0, v[8:9]
	v_cmp_eq_f64_e64 s0, 0, v[10:11]
	s_delay_alu instid0(VALU_DEP_1)
	s_and_b32 s4, vcc_lo, s0
	s_mov_b32 s0, -1
	s_and_saveexec_b32 s1, s4
	s_cbranch_execz .LBB10_6
; %bb.5:
	s_waitcnt vmcnt(0) lgkmcnt(0)
	v_cmp_neq_f64_e32 vcc_lo, 1.0, v[12:13]
	v_cmp_neq_f64_e64 s0, 0, v[14:15]
	s_delay_alu instid0(VALU_DEP_1) | instskip(NEXT) | instid1(SALU_CYCLE_1)
	s_or_b32 s0, vcc_lo, s0
	s_or_not1_b32 s0, s0, exec_lo
.LBB10_6:
	s_or_b32 exec_lo, exec_lo, s1
	s_and_saveexec_b32 s1, s0
	s_cbranch_execz .LBB10_31
; %bb.7:
	s_clause 0x1
	s_load_b32 s0, s[2:3], 0x98
	s_load_b128 s[20:23], s[2:3], 0x0
	s_add_u32 s1, s2, 0x98
	s_addc_u32 s5, s3, 0
	v_mov_b32_e32 v17, 0
	s_mov_b32 s12, 0
	s_waitcnt lgkmcnt(0)
	s_cmp_lt_u32 s14, s0
	s_cselect_b32 s4, 12, 18
	s_delay_alu instid0(SALU_CYCLE_1) | instskip(SKIP_4) | instid1(VALU_DEP_1)
	s_add_u32 s4, s1, s4
	s_addc_u32 s5, s5, 0
	global_load_u16 v0, v17, s[4:5]
	s_waitcnt vmcnt(0)
	v_mad_u64_u32 v[2:3], null, s14, v0, v[1:2]
	v_lshrrev_b32_e32 v16, 4, v2
	s_delay_alu instid0(VALU_DEP_1)
	v_cmp_gt_i32_e32 vcc_lo, s21, v16
	s_and_b32 exec_lo, exec_lo, vcc_lo
	s_cbranch_execz .LBB10_31
; %bb.8:
	s_clause 0x1
	s_load_b128 s[24:27], s[2:3], 0x70
	s_load_b64 s[18:19], s[2:3], 0x50
	v_cmp_neq_f64_e32 vcc_lo, 0, v[12:13]
	v_cmp_neq_f64_e64 s1, 0, v[14:15]
	v_and_b32_e32 v36, 7, v2
	v_mul_lo_u32 v3, s0, v0
	v_lshrrev_b32_e32 v0, 3, v2
	v_lshrrev_b32_e32 v7, 3, v1
	v_bfe_u32 v24, v2, 3, 1
	v_mul_u32_u24_e32 v4, 3, v36
	v_lshl_or_b32 v1, s15, 3, v36
	s_load_b256 s[4:11], s[2:3], 0x30
	v_lshl_or_b32 v37, v7, 5, 0xc00
	v_lshrrev_b32_e32 v39, 4, v3
	v_lshlrev_b32_e32 v18, 4, v4
	v_ashrrev_i32_e32 v2, 31, v1
	v_mul_u32_u24_e32 v38, 0x180, v7
	v_cmp_gt_i32_e64 s0, s22, v1
	s_delay_alu instid0(VALU_DEP_4)
	v_mad_u32_u24 v41, 0x180, v7, v18
	s_waitcnt lgkmcnt(0)
	v_mad_u64_u32 v[3:4], null, v0, s26, 0
	v_lshlrev_b64 v[5:6], 4, v[1:2]
	v_mul_lo_u32 v7, v2, s18
	v_mul_lo_u32 v26, v2, s26
	;; [unrolled: 1-line block ×3, first 2 shown]
	v_mad_u64_u32 v[18:19], null, v1, s18, 0
	v_mov_b32_e32 v2, v4
	v_mul_lo_u32 v27, v1, s27
	v_mad_u64_u32 v[20:21], null, v1, s26, 0
	s_delay_alu instid0(VALU_DEP_3) | instskip(SKIP_2) | instid1(VALU_DEP_4)
	v_mad_u64_u32 v[22:23], null, v0, s27, v[2:3]
	v_add3_u32 v19, v19, v25, v7
	v_add_co_u32 v7, s2, s24, v5
	v_add3_u32 v21, v21, v27, v26
	v_add_co_ci_u32_e64 v23, s2, s25, v6, s2
	v_mov_b32_e32 v4, v22
	v_lshlrev_b64 v[1:2], 4, v[18:19]
	s_or_b32 s13, vcc_lo, s1
	s_cmp_lg_u32 s16, 1
	v_lshlrev_b64 v[5:6], 4, v[20:21]
	s_cselect_b32 s14, -1, 0
	s_cmp_eq_u32 s20, 0
	v_lshlrev_b64 v[3:4], 4, v[3:4]
	v_add_co_u32 v42, vcc_lo, s10, v1
	v_mov_b32_e32 v1, v17
	s_cselect_b32 s1, -1, 0
	v_add_co_ci_u32_e32 v43, vcc_lo, s11, v2, vcc_lo
	v_cndmask_b32_e64 v2, 0, 1, s1
	v_add_co_u32 v18, vcc_lo, v7, v3
	v_add_co_ci_u32_e32 v19, vcc_lo, v23, v4, vcc_lo
	v_lshlrev_b64 v[0:1], 4, v[0:1]
	v_add_co_u32 v3, vcc_lo, s24, v5
	v_lshlrev_b32_e32 v2, v2, v24
	v_add_co_ci_u32_e32 v4, vcc_lo, s25, v6, vcc_lo
	s_delay_alu instid0(VALU_DEP_3) | instskip(NEXT) | instid1(VALU_DEP_3)
	v_add_co_u32 v20, vcc_lo, v3, v0
	v_lshlrev_b32_e32 v0, 4, v2
	s_and_b32 s1, s1, exec_lo
	s_cselect_b32 s1, 1, 2
	s_add_u32 s8, s8, 8
	s_addc_u32 s9, s9, 0
	v_add_co_u32 v44, s2, s8, v0
	s_delay_alu instid0(VALU_DEP_1)
	v_add_co_ci_u32_e64 v45, null, s9, 0, s2
	v_sub_co_u32 v46, s2, v36, s17
	v_add_co_u32 v48, s1, s1, v2
	v_lshl_or_b32 v40, v36, 2, v37
	v_add_co_ci_u32_e32 v21, vcc_lo, v4, v1, vcc_lo
	v_sub_co_ci_u32_e64 v47, null, 0, 0, s2
	v_add_co_ci_u32_e64 v49, null, 0, 0, s1
	s_mov_b32 s10, s17
	s_branch .LBB10_10
.LBB10_9:                               ;   in Loop: Header=BB10_10 Depth=1
	s_or_b32 exec_lo, exec_lo, s1
	v_add_nc_u32_e32 v16, v16, v39
	s_delay_alu instid0(VALU_DEP_1) | instskip(SKIP_1) | instid1(SALU_CYCLE_1)
	v_cmp_le_i32_e32 vcc_lo, s21, v16
	s_or_b32 s12, vcc_lo, s12
	s_and_not1_b32 exec_lo, exec_lo, s12
	s_cbranch_execz .LBB10_31
.LBB10_10:                              ; =>This Loop Header: Depth=1
                                        ;     Child Loop BB10_13 Depth 2
	v_lshlrev_b64 v[0:1], 3, v[16:17]
	v_mov_b32_e32 v32, 0
	v_mov_b32_e32 v33, 0
	s_mov_b32 s11, exec_lo
	s_delay_alu instid0(VALU_DEP_3) | instskip(NEXT) | instid1(VALU_DEP_4)
	v_add_co_u32 v0, vcc_lo, s4, v0
	v_add_co_ci_u32_e32 v1, vcc_lo, s5, v1, vcc_lo
	s_delay_alu instid0(VALU_DEP_3)
	v_dual_mov_b32 v35, v33 :: v_dual_mov_b32 v34, v32
	global_load_b128 v[0:3], v[0:1], off
	s_waitcnt vmcnt(0)
	v_cmpx_lt_i64_e64 v[0:1], v[2:3]
	s_cbranch_execz .LBB10_20
; %bb.11:                               ;   in Loop: Header=BB10_10 Depth=1
	v_add_co_u32 v4, vcc_lo, v46, v0
	v_add_co_ci_u32_e32 v5, vcc_lo, v47, v1, vcc_lo
	v_sub_co_u32 v22, vcc_lo, v2, s10
	v_subrev_co_ci_u32_e32 v23, vcc_lo, 0, v3, vcc_lo
	s_delay_alu instid0(VALU_DEP_3) | instskip(SKIP_3) | instid1(VALU_DEP_4)
	v_lshlrev_b64 v[2:3], 2, v[4:5]
	v_sub_co_u32 v24, vcc_lo, v0, s10
	v_subrev_co_ci_u32_e32 v25, vcc_lo, 0, v1, vcc_lo
	v_lshlrev_b64 v[0:1], 6, v[4:5]
	v_add_co_u32 v4, vcc_lo, v48, v2
	v_add_co_ci_u32_e32 v5, vcc_lo, v49, v3, vcc_lo
	v_mov_b32_e32 v32, 0
	s_delay_alu instid0(VALU_DEP_4) | instskip(SKIP_1) | instid1(VALU_DEP_4)
	v_add_co_u32 v26, vcc_lo, v44, v0
	v_add_co_ci_u32_e32 v27, vcc_lo, v45, v1, vcc_lo
	v_lshlrev_b64 v[0:1], 4, v[4:5]
	v_mov_b32_e32 v33, 0
	v_add_co_u32 v28, vcc_lo, s6, v2
	v_add_co_ci_u32_e32 v29, vcc_lo, s7, v3, vcc_lo
	s_delay_alu instid0(VALU_DEP_4)
	v_add_co_u32 v30, vcc_lo, s8, v0
	v_add_co_ci_u32_e32 v31, vcc_lo, s9, v1, vcc_lo
	v_dual_mov_b32 v35, v33 :: v_dual_mov_b32 v34, v32
	s_mov_b32 s15, 0
	s_branch .LBB10_13
.LBB10_12:                              ;   in Loop: Header=BB10_13 Depth=2
	s_or_b32 exec_lo, exec_lo, s1
	v_add_co_u32 v24, vcc_lo, v24, 8
	v_add_co_ci_u32_e32 v25, vcc_lo, 0, v25, vcc_lo
	v_add_co_u32 v26, vcc_lo, 0x200, v26
	v_add_co_ci_u32_e32 v27, vcc_lo, 0, v27, vcc_lo
	;; [unrolled: 2-line block ×3, first 2 shown]
	v_cmp_ge_i64_e32 vcc_lo, v[24:25], v[22:23]
	v_add_co_u32 v30, s1, 0x200, v30
	s_delay_alu instid0(VALU_DEP_1) | instskip(SKIP_1) | instid1(SALU_CYCLE_1)
	v_add_co_ci_u32_e64 v31, s1, 0, v31, s1
	s_or_b32 s15, vcc_lo, s15
	s_and_not1_b32 exec_lo, exec_lo, s15
	s_cbranch_execz .LBB10_19
.LBB10_13:                              ;   Parent Loop BB10_10 Depth=1
                                        ; =>  This Inner Loop Header: Depth=2
	v_add_co_u32 v0, vcc_lo, v36, v24
	v_add_co_ci_u32_e32 v1, vcc_lo, 0, v25, vcc_lo
	s_mov_b32 s1, exec_lo
                                        ; implicit-def: $sgpr2_sgpr3
	s_delay_alu instid0(VALU_DEP_1)
	v_cmpx_ge_i64_e64 v[0:1], v[22:23]
	s_xor_b32 s1, exec_lo, s1
	s_cbranch_execz .LBB10_15
; %bb.14:                               ;   in Loop: Header=BB10_13 Depth=2
	s_mov_b64 s[2:3], 0
	ds_store_b32 v40, v17
.LBB10_15:                              ;   in Loop: Header=BB10_13 Depth=2
	s_or_saveexec_b32 s1, s1
	v_dual_mov_b32 v0, s2 :: v_dual_mov_b32 v1, s3
	v_dual_mov_b32 v2, s2 :: v_dual_mov_b32 v3, s3
	;; [unrolled: 1-line block ×4, first 2 shown]
	s_xor_b32 exec_lo, exec_lo, s1
	s_cbranch_execz .LBB10_17
; %bb.16:                               ;   in Loop: Header=BB10_13 Depth=2
	global_load_b32 v50, v[28:29], off
	global_load_b128 v[0:3], v[26:27], off offset:-8
	global_load_b128 v[4:7], v[30:31], off offset:-8
	s_waitcnt vmcnt(2)
	v_subrev_nc_u32_e32 v50, s17, v50
	s_delay_alu instid0(VALU_DEP_1)
	v_lshlrev_b32_e32 v50, 1, v50
	ds_store_b32 v40, v50
.LBB10_17:                              ;   in Loop: Header=BB10_13 Depth=2
	s_or_b32 exec_lo, exec_lo, s1
	s_waitcnt vmcnt(1)
	ds_store_b128 v41, v[0:3]
	s_waitcnt vmcnt(0)
	ds_store_b128 v41, v[4:7] offset:16
	s_waitcnt lgkmcnt(0)
	s_waitcnt_vscnt null, 0x0
	s_barrier
	buffer_gl0_inv
	s_and_saveexec_b32 s1, s0
	s_cbranch_execz .LBB10_12
; %bb.18:                               ;   in Loop: Header=BB10_13 Depth=2
	ds_load_b128 v[0:3], v37
	ds_load_b128 v[4:7], v37 offset:16
	s_waitcnt lgkmcnt(1)
	v_ashrrev_i32_e32 v51, 31, v0
	v_mov_b32_e32 v50, v0
	v_ashrrev_i32_e32 v59, 31, v1
	v_mov_b32_e32 v58, v1
	s_delay_alu instid0(VALU_DEP_3) | instskip(NEXT) | instid1(VALU_DEP_2)
	v_lshlrev_b64 v[50:51], 4, v[50:51]
	v_lshlrev_b64 v[0:1], 4, v[58:59]
	s_delay_alu instid0(VALU_DEP_2) | instskip(NEXT) | instid1(VALU_DEP_3)
	v_add_co_u32 v54, vcc_lo, v42, v50
	v_add_co_ci_u32_e32 v55, vcc_lo, v43, v51, vcc_lo
	s_delay_alu instid0(VALU_DEP_3)
	v_add_co_u32 v0, vcc_lo, v42, v0
	s_clause 0x1
	global_load_b128 v[50:53], v[54:55], off
	global_load_b128 v[54:57], v[54:55], off offset:16
	v_add_co_ci_u32_e32 v1, vcc_lo, v43, v1, vcc_lo
	s_clause 0x1
	global_load_b128 v[58:61], v[0:1], off
	global_load_b128 v[62:65], v[0:1], off offset:16
	v_ashrrev_i32_e32 v1, 31, v2
	v_mov_b32_e32 v0, v2
	ds_load_b128 v[66:69], v38
	ds_load_b128 v[74:77], v38 offset:16
	v_lshlrev_b64 v[0:1], 4, v[0:1]
	s_delay_alu instid0(VALU_DEP_1) | instskip(NEXT) | instid1(VALU_DEP_2)
	v_add_co_u32 v0, vcc_lo, v42, v0
	v_add_co_ci_u32_e32 v1, vcc_lo, v43, v1, vcc_lo
	global_load_b128 v[70:73], v[0:1], off
	s_waitcnt vmcnt(4) lgkmcnt(1)
	v_fma_f64 v[34:35], v[66:67], v[50:51], v[34:35]
	v_fma_f64 v[32:33], v[68:69], v[50:51], v[32:33]
	s_delay_alu instid0(VALU_DEP_2) | instskip(NEXT) | instid1(VALU_DEP_2)
	v_fma_f64 v[50:51], -v[68:69], v[52:53], v[34:35]
	v_fma_f64 v[52:53], v[66:67], v[52:53], v[32:33]
	global_load_b128 v[32:35], v[0:1], off offset:16
	s_waitcnt vmcnt(4) lgkmcnt(0)
	v_fma_f64 v[0:1], v[74:75], v[54:55], v[50:51]
	v_fma_f64 v[50:51], v[76:77], v[54:55], v[52:53]
	s_delay_alu instid0(VALU_DEP_2) | instskip(NEXT) | instid1(VALU_DEP_2)
	v_fma_f64 v[66:67], -v[76:77], v[56:57], v[0:1]
	v_fma_f64 v[68:69], v[74:75], v[56:57], v[50:51]
	v_ashrrev_i32_e32 v1, 31, v3
	v_mov_b32_e32 v0, v3
	ds_load_b128 v[54:57], v38 offset:64
	v_lshlrev_b64 v[0:1], 4, v[0:1]
	s_delay_alu instid0(VALU_DEP_1) | instskip(NEXT) | instid1(VALU_DEP_2)
	v_add_co_u32 v74, vcc_lo, v42, v0
	v_add_co_ci_u32_e32 v75, vcc_lo, v43, v1, vcc_lo
	ds_load_b128 v[0:3], v38 offset:48
	global_load_b128 v[50:53], v[74:75], off
	s_waitcnt vmcnt(4) lgkmcnt(0)
	v_fma_f64 v[66:67], v[0:1], v[58:59], v[66:67]
	v_fma_f64 v[58:59], v[2:3], v[58:59], v[68:69]
	s_delay_alu instid0(VALU_DEP_2) | instskip(NEXT) | instid1(VALU_DEP_2)
	v_fma_f64 v[66:67], -v[2:3], v[60:61], v[66:67]
	v_fma_f64 v[58:59], v[0:1], v[60:61], v[58:59]
	global_load_b128 v[0:3], v[74:75], off offset:16
	s_waitcnt vmcnt(4)
	v_fma_f64 v[60:61], v[54:55], v[62:63], v[66:67]
	v_fma_f64 v[58:59], v[56:57], v[62:63], v[58:59]
	s_delay_alu instid0(VALU_DEP_2) | instskip(NEXT) | instid1(VALU_DEP_2)
	v_fma_f64 v[66:67], -v[56:57], v[64:65], v[60:61]
	v_fma_f64 v[68:69], v[54:55], v[64:65], v[58:59]
	v_ashrrev_i32_e32 v55, 31, v4
	v_mov_b32_e32 v54, v4
	ds_load_b128 v[62:65], v38 offset:112
	v_lshlrev_b64 v[54:55], 4, v[54:55]
	s_delay_alu instid0(VALU_DEP_1) | instskip(NEXT) | instid1(VALU_DEP_2)
	v_add_co_u32 v74, vcc_lo, v42, v54
	v_add_co_ci_u32_e32 v75, vcc_lo, v43, v55, vcc_lo
	ds_load_b128 v[54:57], v38 offset:96
	global_load_b128 v[58:61], v[74:75], off
	s_waitcnt vmcnt(4) lgkmcnt(0)
	v_fma_f64 v[66:67], v[54:55], v[70:71], v[66:67]
	v_fma_f64 v[68:69], v[56:57], v[70:71], v[68:69]
	s_delay_alu instid0(VALU_DEP_2) | instskip(NEXT) | instid1(VALU_DEP_2)
	v_fma_f64 v[66:67], -v[56:57], v[72:73], v[66:67]
	v_fma_f64 v[68:69], v[54:55], v[72:73], v[68:69]
	global_load_b128 v[54:57], v[74:75], off offset:16
	s_waitcnt vmcnt(4)
	v_fma_f64 v[66:67], v[62:63], v[32:33], v[66:67]
	v_fma_f64 v[32:33], v[64:65], v[32:33], v[68:69]
	s_delay_alu instid0(VALU_DEP_2) | instskip(NEXT) | instid1(VALU_DEP_2)
	v_fma_f64 v[70:71], -v[64:65], v[34:35], v[66:67]
	v_fma_f64 v[72:73], v[62:63], v[34:35], v[32:33]
	v_ashrrev_i32_e32 v33, 31, v5
	v_mov_b32_e32 v32, v5
	ds_load_b128 v[66:69], v38 offset:160
	v_lshlrev_b64 v[4:5], 4, v[32:33]
	ds_load_b128 v[32:35], v38 offset:144
	v_add_co_u32 v4, vcc_lo, v42, v4
	v_add_co_ci_u32_e32 v5, vcc_lo, v43, v5, vcc_lo
	global_load_b128 v[62:65], v[4:5], off
	s_waitcnt vmcnt(4) lgkmcnt(0)
	v_fma_f64 v[70:71], v[32:33], v[50:51], v[70:71]
	v_fma_f64 v[50:51], v[34:35], v[50:51], v[72:73]
	s_delay_alu instid0(VALU_DEP_2) | instskip(NEXT) | instid1(VALU_DEP_2)
	v_fma_f64 v[70:71], -v[34:35], v[52:53], v[70:71]
	v_fma_f64 v[50:51], v[32:33], v[52:53], v[50:51]
	global_load_b128 v[32:35], v[4:5], off offset:16
	s_waitcnt vmcnt(4)
	v_fma_f64 v[4:5], v[66:67], v[0:1], v[70:71]
	v_fma_f64 v[0:1], v[68:69], v[0:1], v[50:51]
	s_delay_alu instid0(VALU_DEP_2) | instskip(NEXT) | instid1(VALU_DEP_2)
	v_fma_f64 v[4:5], -v[68:69], v[2:3], v[4:5]
	v_fma_f64 v[70:71], v[66:67], v[2:3], v[0:1]
	v_ashrrev_i32_e32 v1, 31, v6
	v_mov_b32_e32 v0, v6
	ds_load_b128 v[66:69], v38 offset:208
	v_lshlrev_b64 v[0:1], 4, v[0:1]
	s_delay_alu instid0(VALU_DEP_1) | instskip(NEXT) | instid1(VALU_DEP_2)
	v_add_co_u32 v72, vcc_lo, v42, v0
	v_add_co_ci_u32_e32 v73, vcc_lo, v43, v1, vcc_lo
	ds_load_b128 v[0:3], v38 offset:192
	global_load_b128 v[50:53], v[72:73], off
	s_waitcnt vmcnt(4) lgkmcnt(0)
	v_fma_f64 v[4:5], v[0:1], v[58:59], v[4:5]
	v_fma_f64 v[58:59], v[2:3], v[58:59], v[70:71]
	s_delay_alu instid0(VALU_DEP_2) | instskip(NEXT) | instid1(VALU_DEP_2)
	v_fma_f64 v[4:5], -v[2:3], v[60:61], v[4:5]
	v_fma_f64 v[58:59], v[0:1], v[60:61], v[58:59]
	global_load_b128 v[0:3], v[72:73], off offset:16
	s_waitcnt vmcnt(4)
	v_fma_f64 v[4:5], v[66:67], v[54:55], v[4:5]
	v_fma_f64 v[54:55], v[68:69], v[54:55], v[58:59]
	ds_load_b128 v[58:61], v38 offset:256
	v_fma_f64 v[68:69], -v[68:69], v[56:57], v[4:5]
	v_fma_f64 v[66:67], v[66:67], v[56:57], v[54:55]
	v_ashrrev_i32_e32 v5, 31, v7
	v_mov_b32_e32 v4, v7
	s_delay_alu instid0(VALU_DEP_1) | instskip(NEXT) | instid1(VALU_DEP_1)
	v_lshlrev_b64 v[4:5], 4, v[4:5]
	v_add_co_u32 v70, vcc_lo, v42, v4
	s_delay_alu instid0(VALU_DEP_2)
	v_add_co_ci_u32_e32 v71, vcc_lo, v43, v5, vcc_lo
	ds_load_b128 v[4:7], v38 offset:240
	global_load_b128 v[54:57], v[70:71], off
	s_waitcnt vmcnt(4) lgkmcnt(0)
	v_fma_f64 v[68:69], v[4:5], v[62:63], v[68:69]
	v_fma_f64 v[62:63], v[6:7], v[62:63], v[66:67]
	s_delay_alu instid0(VALU_DEP_2) | instskip(NEXT) | instid1(VALU_DEP_2)
	v_fma_f64 v[66:67], -v[6:7], v[64:65], v[68:69]
	v_fma_f64 v[62:63], v[4:5], v[64:65], v[62:63]
	global_load_b128 v[4:7], v[70:71], off offset:16
	s_waitcnt vmcnt(4)
	v_fma_f64 v[64:65], v[58:59], v[32:33], v[66:67]
	v_fma_f64 v[32:33], v[60:61], v[32:33], v[62:63]
	s_delay_alu instid0(VALU_DEP_2) | instskip(NEXT) | instid1(VALU_DEP_2)
	v_fma_f64 v[62:63], -v[60:61], v[34:35], v[64:65]
	v_fma_f64 v[64:65], v[58:59], v[34:35], v[32:33]
	ds_load_b128 v[32:35], v38 offset:288
	ds_load_b128 v[58:61], v38 offset:304
	s_waitcnt vmcnt(3) lgkmcnt(1)
	v_fma_f64 v[62:63], v[32:33], v[50:51], v[62:63]
	v_fma_f64 v[50:51], v[34:35], v[50:51], v[64:65]
	s_delay_alu instid0(VALU_DEP_2) | instskip(NEXT) | instid1(VALU_DEP_2)
	v_fma_f64 v[34:35], -v[34:35], v[52:53], v[62:63]
	v_fma_f64 v[32:33], v[32:33], v[52:53], v[50:51]
	s_waitcnt vmcnt(2) lgkmcnt(0)
	s_delay_alu instid0(VALU_DEP_2) | instskip(NEXT) | instid1(VALU_DEP_2)
	v_fma_f64 v[34:35], v[58:59], v[0:1], v[34:35]
	v_fma_f64 v[0:1], v[60:61], v[0:1], v[32:33]
	s_delay_alu instid0(VALU_DEP_2) | instskip(NEXT) | instid1(VALU_DEP_2)
	v_fma_f64 v[50:51], -v[60:61], v[2:3], v[34:35]
	v_fma_f64 v[52:53], v[58:59], v[2:3], v[0:1]
	ds_load_b128 v[0:3], v38 offset:336
	ds_load_b128 v[32:35], v38 offset:352
	s_waitcnt vmcnt(1) lgkmcnt(1)
	v_fma_f64 v[50:51], v[0:1], v[54:55], v[50:51]
	v_fma_f64 v[52:53], v[2:3], v[54:55], v[52:53]
	s_delay_alu instid0(VALU_DEP_2) | instskip(NEXT) | instid1(VALU_DEP_2)
	v_fma_f64 v[2:3], -v[2:3], v[56:57], v[50:51]
	v_fma_f64 v[0:1], v[0:1], v[56:57], v[52:53]
	s_waitcnt vmcnt(0) lgkmcnt(0)
	s_delay_alu instid0(VALU_DEP_2) | instskip(NEXT) | instid1(VALU_DEP_2)
	v_fma_f64 v[2:3], v[32:33], v[4:5], v[2:3]
	v_fma_f64 v[0:1], v[34:35], v[4:5], v[0:1]
	s_delay_alu instid0(VALU_DEP_2) | instskip(NEXT) | instid1(VALU_DEP_2)
	v_fma_f64 v[34:35], -v[34:35], v[6:7], v[2:3]
	v_fma_f64 v[32:33], v[32:33], v[6:7], v[0:1]
	s_branch .LBB10_12
.LBB10_19:                              ;   in Loop: Header=BB10_10 Depth=1
	s_or_b32 exec_lo, exec_lo, s15
.LBB10_20:                              ;   in Loop: Header=BB10_10 Depth=1
	s_delay_alu instid0(SALU_CYCLE_1)
	s_or_b32 exec_lo, exec_lo, s11
	s_and_saveexec_b32 s1, s0
	s_cbranch_execz .LBB10_9
; %bb.21:                               ;   in Loop: Header=BB10_10 Depth=1
	v_mul_f64 v[0:1], v[32:33], -v[10:11]
	v_mul_f64 v[2:3], v[8:9], v[32:33]
	s_delay_alu instid0(VALU_DEP_2) | instskip(NEXT) | instid1(VALU_DEP_2)
	v_fma_f64 v[0:1], v[8:9], v[34:35], v[0:1]
	v_fma_f64 v[2:3], v[10:11], v[34:35], v[2:3]
	s_and_saveexec_b32 s2, s13
	s_delay_alu instid0(SALU_CYCLE_1)
	s_xor_b32 s2, exec_lo, s2
	s_cbranch_execz .LBB10_26
; %bb.22:                               ;   in Loop: Header=BB10_10 Depth=1
	s_and_b32 vcc_lo, exec_lo, s14
	s_mov_b32 s3, -1
	s_cbranch_vccz .LBB10_24
; %bb.23:                               ;   in Loop: Header=BB10_10 Depth=1
	global_load_b128 v[4:7], v[18:19], off
	s_mov_b32 s3, 0
	s_waitcnt vmcnt(0)
	v_fma_f64 v[22:23], v[12:13], v[4:5], v[0:1]
	v_fma_f64 v[24:25], v[14:15], v[4:5], v[2:3]
	s_delay_alu instid0(VALU_DEP_2) | instskip(NEXT) | instid1(VALU_DEP_2)
	v_fma_f64 v[4:5], -v[14:15], v[6:7], v[22:23]
	v_fma_f64 v[6:7], v[12:13], v[6:7], v[24:25]
	global_store_b128 v[18:19], v[4:7], off
.LBB10_24:                              ;   in Loop: Header=BB10_10 Depth=1
	s_and_not1_b32 vcc_lo, exec_lo, s3
	s_cbranch_vccnz .LBB10_26
; %bb.25:                               ;   in Loop: Header=BB10_10 Depth=1
	global_load_b128 v[4:7], v[20:21], off
	s_waitcnt vmcnt(0)
	v_fma_f64 v[0:1], v[12:13], v[4:5], v[0:1]
	v_fma_f64 v[2:3], v[14:15], v[4:5], v[2:3]
	s_delay_alu instid0(VALU_DEP_2) | instskip(NEXT) | instid1(VALU_DEP_2)
	v_fma_f64 v[0:1], -v[14:15], v[6:7], v[0:1]
	v_fma_f64 v[2:3], v[12:13], v[6:7], v[2:3]
	global_store_b128 v[20:21], v[0:3], off
                                        ; implicit-def: $vgpr0_vgpr1
.LBB10_26:                              ;   in Loop: Header=BB10_10 Depth=1
	s_and_not1_saveexec_b32 s2, s2
	s_cbranch_execz .LBB10_9
; %bb.27:                               ;   in Loop: Header=BB10_10 Depth=1
	s_and_b32 vcc_lo, exec_lo, s14
	s_mov_b32 s2, -1
	s_cbranch_vccz .LBB10_29
; %bb.28:                               ;   in Loop: Header=BB10_10 Depth=1
	s_mov_b32 s2, 0
	global_store_b128 v[18:19], v[0:3], off
.LBB10_29:                              ;   in Loop: Header=BB10_10 Depth=1
	s_and_not1_b32 vcc_lo, exec_lo, s2
	s_cbranch_vccnz .LBB10_9
; %bb.30:                               ;   in Loop: Header=BB10_10 Depth=1
	global_store_b128 v[20:21], v[0:3], off
	s_branch .LBB10_9
.LBB10_31:
	s_endpgm
	.section	.rodata,"a",@progbits
	.p2align	6, 0x0
	.amdhsa_kernel _ZN9rocsparseL29bsrmmnn_small_blockdim_kernelILj64ELj8ELj2Eli21rocsparse_complex_numIdES2_S2_S2_EEv20rocsparse_direction_T3_S4_llNS_24const_host_device_scalarIT7_EEPKT2_PKS4_PKT4_PKT5_llS7_PT6_ll16rocsparse_order_21rocsparse_index_base_b
		.amdhsa_group_segment_fixed_size 3840
		.amdhsa_private_segment_fixed_size 16
		.amdhsa_kernarg_size 408
		.amdhsa_user_sgpr_count 14
		.amdhsa_user_sgpr_dispatch_ptr 1
		.amdhsa_user_sgpr_queue_ptr 0
		.amdhsa_user_sgpr_kernarg_segment_ptr 1
		.amdhsa_user_sgpr_dispatch_id 0
		.amdhsa_user_sgpr_private_segment_size 0
		.amdhsa_wavefront_size32 1
		.amdhsa_uses_dynamic_stack 0
		.amdhsa_enable_private_segment 1
		.amdhsa_system_sgpr_workgroup_id_x 1
		.amdhsa_system_sgpr_workgroup_id_y 1
		.amdhsa_system_sgpr_workgroup_id_z 0
		.amdhsa_system_sgpr_workgroup_info 0
		.amdhsa_system_vgpr_workitem_id 2
		.amdhsa_next_free_vgpr 78
		.amdhsa_next_free_sgpr 28
		.amdhsa_reserve_vcc 1
		.amdhsa_float_round_mode_32 0
		.amdhsa_float_round_mode_16_64 0
		.amdhsa_float_denorm_mode_32 3
		.amdhsa_float_denorm_mode_16_64 3
		.amdhsa_dx10_clamp 1
		.amdhsa_ieee_mode 1
		.amdhsa_fp16_overflow 0
		.amdhsa_workgroup_processor_mode 1
		.amdhsa_memory_ordered 1
		.amdhsa_forward_progress 0
		.amdhsa_shared_vgpr_count 0
		.amdhsa_exception_fp_ieee_invalid_op 0
		.amdhsa_exception_fp_denorm_src 0
		.amdhsa_exception_fp_ieee_div_zero 0
		.amdhsa_exception_fp_ieee_overflow 0
		.amdhsa_exception_fp_ieee_underflow 0
		.amdhsa_exception_fp_ieee_inexact 0
		.amdhsa_exception_int_div_zero 0
	.end_amdhsa_kernel
	.section	.text._ZN9rocsparseL29bsrmmnn_small_blockdim_kernelILj64ELj8ELj2Eli21rocsparse_complex_numIdES2_S2_S2_EEv20rocsparse_direction_T3_S4_llNS_24const_host_device_scalarIT7_EEPKT2_PKS4_PKT4_PKT5_llS7_PT6_ll16rocsparse_order_21rocsparse_index_base_b,"axG",@progbits,_ZN9rocsparseL29bsrmmnn_small_blockdim_kernelILj64ELj8ELj2Eli21rocsparse_complex_numIdES2_S2_S2_EEv20rocsparse_direction_T3_S4_llNS_24const_host_device_scalarIT7_EEPKT2_PKS4_PKT4_PKT5_llS7_PT6_ll16rocsparse_order_21rocsparse_index_base_b,comdat
.Lfunc_end10:
	.size	_ZN9rocsparseL29bsrmmnn_small_blockdim_kernelILj64ELj8ELj2Eli21rocsparse_complex_numIdES2_S2_S2_EEv20rocsparse_direction_T3_S4_llNS_24const_host_device_scalarIT7_EEPKT2_PKS4_PKT4_PKT5_llS7_PT6_ll16rocsparse_order_21rocsparse_index_base_b, .Lfunc_end10-_ZN9rocsparseL29bsrmmnn_small_blockdim_kernelILj64ELj8ELj2Eli21rocsparse_complex_numIdES2_S2_S2_EEv20rocsparse_direction_T3_S4_llNS_24const_host_device_scalarIT7_EEPKT2_PKS4_PKT4_PKT5_llS7_PT6_ll16rocsparse_order_21rocsparse_index_base_b
                                        ; -- End function
	.section	.AMDGPU.csdata,"",@progbits
; Kernel info:
; codeLenInByte = 2900
; NumSgprs: 30
; NumVgprs: 78
; ScratchSize: 16
; MemoryBound: 1
; FloatMode: 240
; IeeeMode: 1
; LDSByteSize: 3840 bytes/workgroup (compile time only)
; SGPRBlocks: 3
; VGPRBlocks: 9
; NumSGPRsForWavesPerEU: 30
; NumVGPRsForWavesPerEU: 78
; Occupancy: 16
; WaveLimiterHint : 0
; COMPUTE_PGM_RSRC2:SCRATCH_EN: 1
; COMPUTE_PGM_RSRC2:USER_SGPR: 14
; COMPUTE_PGM_RSRC2:TRAP_HANDLER: 0
; COMPUTE_PGM_RSRC2:TGID_X_EN: 1
; COMPUTE_PGM_RSRC2:TGID_Y_EN: 1
; COMPUTE_PGM_RSRC2:TGID_Z_EN: 0
; COMPUTE_PGM_RSRC2:TIDIG_COMP_CNT: 2
	.section	.text._ZN9rocsparseL29bsrmmnn_small_blockdim_kernelILj64ELj8ELj2Ell21rocsparse_complex_numIdES2_S2_S2_EEv20rocsparse_direction_T3_S4_llNS_24const_host_device_scalarIT7_EEPKT2_PKS4_PKT4_PKT5_llS7_PT6_ll16rocsparse_order_21rocsparse_index_base_b,"axG",@progbits,_ZN9rocsparseL29bsrmmnn_small_blockdim_kernelILj64ELj8ELj2Ell21rocsparse_complex_numIdES2_S2_S2_EEv20rocsparse_direction_T3_S4_llNS_24const_host_device_scalarIT7_EEPKT2_PKS4_PKT4_PKT5_llS7_PT6_ll16rocsparse_order_21rocsparse_index_base_b,comdat
	.globl	_ZN9rocsparseL29bsrmmnn_small_blockdim_kernelILj64ELj8ELj2Ell21rocsparse_complex_numIdES2_S2_S2_EEv20rocsparse_direction_T3_S4_llNS_24const_host_device_scalarIT7_EEPKT2_PKS4_PKT4_PKT5_llS7_PT6_ll16rocsparse_order_21rocsparse_index_base_b ; -- Begin function _ZN9rocsparseL29bsrmmnn_small_blockdim_kernelILj64ELj8ELj2Ell21rocsparse_complex_numIdES2_S2_S2_EEv20rocsparse_direction_T3_S4_llNS_24const_host_device_scalarIT7_EEPKT2_PKS4_PKT4_PKT5_llS7_PT6_ll16rocsparse_order_21rocsparse_index_base_b
	.p2align	8
	.type	_ZN9rocsparseL29bsrmmnn_small_blockdim_kernelILj64ELj8ELj2Ell21rocsparse_complex_numIdES2_S2_S2_EEv20rocsparse_direction_T3_S4_llNS_24const_host_device_scalarIT7_EEPKT2_PKS4_PKT4_PKT5_llS7_PT6_ll16rocsparse_order_21rocsparse_index_base_b,@function
_ZN9rocsparseL29bsrmmnn_small_blockdim_kernelILj64ELj8ELj2Ell21rocsparse_complex_numIdES2_S2_S2_EEv20rocsparse_direction_T3_S4_llNS_24const_host_device_scalarIT7_EEPKT2_PKS4_PKT4_PKT5_llS7_PT6_ll16rocsparse_order_21rocsparse_index_base_b: ; @_ZN9rocsparseL29bsrmmnn_small_blockdim_kernelILj64ELj8ELj2Ell21rocsparse_complex_numIdES2_S2_S2_EEv20rocsparse_direction_T3_S4_llNS_24const_host_device_scalarIT7_EEPKT2_PKS4_PKT4_PKT5_llS7_PT6_ll16rocsparse_order_21rocsparse_index_base_b
; %bb.0:
	s_load_b128 s[20:23], s[2:3], 0x90
	s_load_b64 s[12:13], s[0:1], 0x4
	s_load_b128 s[8:11], s[2:3], 0x28
	v_bfe_u32 v2, v0, 10, 10
	s_mov_b64 s[0:1], src_shared_base
	s_load_b128 s[4:7], s[2:3], 0x68
	v_and_b32_e32 v1, 0x3ff, v0
	v_bfe_u32 v0, v0, 20, 10
	s_waitcnt lgkmcnt(0)
	s_bitcmp1_b32 s22, 0
	v_mul_u32_u24_e32 v2, s13, v2
	s_cselect_b32 s0, -1, 0
	v_mov_b32_e32 v10, s10
	s_and_b32 vcc_lo, s0, exec_lo
	s_cselect_b32 s1, s1, s9
	s_lshr_b32 s12, s12, 16
	v_dual_mov_b32 v4, s4 :: v_dual_mov_b32 v5, s5
	s_mul_i32 s12, s12, s13
	v_mov_b32_e32 v7, s1
	v_mad_u32_u24 v2, s12, v1, v2
	v_mov_b32_e32 v11, s11
	scratch_store_b64 off, v[4:5], off
	s_xor_b32 s1, s0, -1
	v_add_lshl_u32 v0, v2, v0, 3
	v_dual_mov_b32 v2, s8 :: v_dual_mov_b32 v3, s9
	s_delay_alu instid0(VALU_DEP_2)
	v_add_nc_u32_e32 v6, 0xe00, v0
	ds_store_b64 v0, v[2:3] offset:3584
	v_cndmask_b32_e64 v6, s8, v6, s0
	flat_load_b64 v[8:9], v[6:7]
	s_cbranch_vccnz .LBB11_2
; %bb.1:
	v_dual_mov_b32 v2, s8 :: v_dual_mov_b32 v3, s9
	flat_load_b64 v[10:11], v[2:3] offset:8
.LBB11_2:
	s_mov_b64 s[8:9], src_private_base
	s_and_b32 s8, s0, exec_lo
	s_cselect_b32 s8, s9, s5
	s_delay_alu instid0(SALU_CYCLE_1) | instskip(SKIP_2) | instid1(VALU_DEP_2)
	v_dual_mov_b32 v0, 0 :: v_dual_mov_b32 v3, s8
	v_dual_mov_b32 v15, s7 :: v_dual_mov_b32 v14, s6
	s_and_not1_b32 vcc_lo, exec_lo, s1
	v_cndmask_b32_e64 v2, s4, v0, s0
	flat_load_b64 v[12:13], v[2:3]
	s_cbranch_vccnz .LBB11_4
; %bb.3:
	v_dual_mov_b32 v2, s4 :: v_dual_mov_b32 v3, s5
	flat_load_b64 v[14:15], v[2:3] offset:8
.LBB11_4:
	s_waitcnt vmcnt(1) lgkmcnt(1)
	v_cmp_eq_f64_e32 vcc_lo, 0, v[8:9]
	v_cmp_eq_f64_e64 s0, 0, v[10:11]
	s_delay_alu instid0(VALU_DEP_1)
	s_and_b32 s4, vcc_lo, s0
	s_mov_b32 s0, -1
	s_and_saveexec_b32 s1, s4
	s_cbranch_execz .LBB11_6
; %bb.5:
	s_waitcnt vmcnt(0) lgkmcnt(0)
	v_cmp_neq_f64_e32 vcc_lo, 1.0, v[12:13]
	v_cmp_neq_f64_e64 s0, 0, v[14:15]
	s_delay_alu instid0(VALU_DEP_1) | instskip(NEXT) | instid1(SALU_CYCLE_1)
	s_or_b32 s0, vcc_lo, s0
	s_or_not1_b32 s0, s0, exec_lo
.LBB11_6:
	s_or_b32 exec_lo, exec_lo, s1
	s_and_saveexec_b32 s1, s0
	s_cbranch_execz .LBB11_31
; %bb.7:
	s_clause 0x1
	s_load_b32 s1, s[2:3], 0xa0
	s_load_b128 s[16:19], s[2:3], 0x8
	s_add_u32 s0, s2, 0xa0
	s_addc_u32 s5, s3, 0
	v_mov_b32_e32 v16, 0
	s_mov_b32 s12, 0
	s_delay_alu instid0(VALU_DEP_1) | instskip(SKIP_3) | instid1(SALU_CYCLE_1)
	v_mov_b32_e32 v19, v16
	s_waitcnt lgkmcnt(0)
	s_cmp_lt_u32 s14, s1
	s_cselect_b32 s4, 12, 18
	s_add_u32 s4, s0, s4
	s_addc_u32 s5, s5, 0
	global_load_u16 v0, v16, s[4:5]
	s_waitcnt vmcnt(0)
	v_mad_u64_u32 v[2:3], null, s14, v0, v[1:2]
	s_delay_alu instid0(VALU_DEP_1) | instskip(NEXT) | instid1(VALU_DEP_1)
	v_lshrrev_b32_e32 v18, 4, v2
	v_cmp_gt_i64_e32 vcc_lo, s[16:17], v[18:19]
	s_and_b32 exec_lo, exec_lo, vcc_lo
	s_cbranch_execz .LBB11_31
; %bb.8:
	s_clause 0x1
	s_load_b64 s[22:23], s[2:3], 0x58
	s_load_b128 s[24:27], s[2:3], 0x78
	v_cmp_neq_f64_e32 vcc_lo, 0, v[12:13]
	v_cmp_neq_f64_e64 s0, 0, v[14:15]
	v_dual_mov_b32 v23, v16 :: v_dual_and_b32 v38, 7, v2
	v_lshrrev_b32_e32 v5, 3, v2
	v_mul_lo_u32 v7, s1, v0
	v_bfe_u32 v22, v2, 3, 1
	s_delay_alu instid0(VALU_DEP_4)
	v_lshl_or_b32 v3, s15, 3, v38
	v_mul_u32_u24_e32 v2, 3, v38
	v_lshrrev_b32_e32 v17, 3, v1
	v_mov_b32_e32 v4, v16
	s_clause 0x1
	s_load_b256 s[4:11], s[2:3], 0x38
	s_load_b32 s2, s[2:3], 0x0
	v_lshrrev_b32_e32 v40, 4, v7
	v_lshlrev_b32_e32 v7, 4, v2
	v_lshlrev_b64 v[24:25], 4, v[3:4]
	v_lshl_or_b32 v39, v17, 6, 0xc00
	v_mul_u32_u24_e32 v43, 0x180, v17
	s_waitcnt lgkmcnt(0)
	v_mad_u64_u32 v[0:1], null, v3, s22, 0
	v_mad_u64_u32 v[20:21], null, v5, s26, 0
	;; [unrolled: 1-line block ×3, first 2 shown]
	v_mad_u32_u24 v42, 0x180, v17, v7
	v_lshl_or_b32 v41, v38, 3, v39
	s_delay_alu instid0(VALU_DEP_4) | instskip(NEXT) | instid1(VALU_DEP_1)
	v_mov_b32_e32 v2, v21
	v_mad_u64_u32 v[28:29], null, v3, s23, v[1:2]
	s_or_b32 s13, vcc_lo, s0
	s_cmp_lg_u32 s20, 1
	s_delay_alu instid0(VALU_DEP_1)
	v_mov_b32_e32 v1, v28
	v_mad_u64_u32 v[29:30], null, v5, s27, v[2:3]
	v_mov_b32_e32 v2, v27
	v_add_co_u32 v30, s1, s24, v24
	v_mov_b32_e32 v6, v16
	v_add_co_ci_u32_e64 v31, s1, s25, v25, s1
	v_mov_b32_e32 v21, v29
	v_mad_u64_u32 v[24:25], null, v3, s27, v[2:3]
	s_cselect_b32 s14, -1, 0
	s_cmp_eq_u32 s2, 0
	s_delay_alu instid0(VALU_DEP_2) | instskip(SKIP_3) | instid1(VALU_DEP_4)
	v_lshlrev_b64 v[20:21], 4, v[20:21]
	v_cmp_gt_i64_e64 s0, s[18:19], v[3:4]
	v_lshlrev_b64 v[2:3], 4, v[5:6]
	s_cselect_b32 s1, -1, 0
	v_mov_b32_e32 v27, v24
	v_cndmask_b32_e64 v6, 0, 1, s1
	v_add_co_u32 v20, vcc_lo, v30, v20
	v_add_co_ci_u32_e32 v21, vcc_lo, v31, v21, vcc_lo
	s_delay_alu instid0(VALU_DEP_4) | instskip(SKIP_4) | instid1(VALU_DEP_4)
	v_lshlrev_b64 v[4:5], 4, v[26:27]
	v_add_co_u32 v7, vcc_lo, s24, v2
	v_add_co_ci_u32_e32 v17, vcc_lo, s25, v3, vcc_lo
	v_lshlrev_b64 v[2:3], v6, v[22:23]
	v_lshlrev_b64 v[0:1], 4, v[0:1]
	v_add_co_u32 v22, vcc_lo, v7, v4
	s_delay_alu instid0(VALU_DEP_4) | instskip(NEXT) | instid1(VALU_DEP_4)
	v_add_co_ci_u32_e32 v23, vcc_lo, v17, v5, vcc_lo
	v_lshlrev_b64 v[4:5], 4, v[2:3]
	s_and_b32 s1, s1, exec_lo
	s_delay_alu instid0(VALU_DEP_4)
	v_add_co_u32 v44, vcc_lo, s10, v0
	s_cselect_b32 s1, 1, 2
	s_add_u32 s8, s8, 8
	v_add_co_ci_u32_e32 v45, vcc_lo, s11, v1, vcc_lo
	s_addc_u32 s9, s9, 0
	v_add_co_u32 v46, vcc_lo, s8, v4
	v_add_co_ci_u32_e32 v47, vcc_lo, s9, v5, vcc_lo
	v_sub_co_u32 v48, s2, v38, s21
	v_add_co_u32 v50, vcc_lo, s1, v2
	v_sub_co_ci_u32_e64 v49, null, 0, 0, s2
	v_add_co_ci_u32_e32 v51, vcc_lo, 0, v3, vcc_lo
	s_mov_b32 s10, s21
	s_branch .LBB11_10
.LBB11_9:                               ;   in Loop: Header=BB11_10 Depth=1
	s_or_b32 exec_lo, exec_lo, s1
	v_add_co_u32 v18, vcc_lo, v18, v40
	v_add_co_ci_u32_e32 v19, vcc_lo, 0, v19, vcc_lo
	s_delay_alu instid0(VALU_DEP_1) | instskip(SKIP_1) | instid1(SALU_CYCLE_1)
	v_cmp_le_i64_e32 vcc_lo, s[16:17], v[18:19]
	s_or_b32 s12, vcc_lo, s12
	s_and_not1_b32 exec_lo, exec_lo, s12
	s_cbranch_execz .LBB11_31
.LBB11_10:                              ; =>This Loop Header: Depth=1
                                        ;     Child Loop BB11_13 Depth 2
	v_lshlrev_b64 v[0:1], 3, v[18:19]
	v_mov_b32_e32 v34, 0
	v_mov_b32_e32 v35, 0
	s_mov_b32 s11, exec_lo
	s_delay_alu instid0(VALU_DEP_3) | instskip(NEXT) | instid1(VALU_DEP_4)
	v_add_co_u32 v0, vcc_lo, s4, v0
	v_add_co_ci_u32_e32 v1, vcc_lo, s5, v1, vcc_lo
	s_delay_alu instid0(VALU_DEP_3)
	v_dual_mov_b32 v37, v35 :: v_dual_mov_b32 v36, v34
	global_load_b128 v[0:3], v[0:1], off
	s_waitcnt vmcnt(0)
	v_cmpx_lt_i64_e64 v[0:1], v[2:3]
	s_cbranch_execz .LBB11_20
; %bb.11:                               ;   in Loop: Header=BB11_10 Depth=1
	v_add_co_u32 v4, vcc_lo, v48, v0
	v_add_co_ci_u32_e32 v5, vcc_lo, v49, v1, vcc_lo
	v_sub_co_u32 v24, vcc_lo, v2, s10
	v_subrev_co_ci_u32_e32 v25, vcc_lo, 0, v3, vcc_lo
	s_delay_alu instid0(VALU_DEP_3) | instskip(SKIP_3) | instid1(VALU_DEP_4)
	v_lshlrev_b64 v[2:3], 2, v[4:5]
	v_sub_co_u32 v26, vcc_lo, v0, s10
	v_subrev_co_ci_u32_e32 v27, vcc_lo, 0, v1, vcc_lo
	v_lshlrev_b64 v[0:1], 6, v[4:5]
	v_add_co_u32 v2, vcc_lo, v50, v2
	v_add_co_ci_u32_e32 v3, vcc_lo, v51, v3, vcc_lo
	v_lshlrev_b64 v[4:5], 3, v[4:5]
	s_delay_alu instid0(VALU_DEP_4) | instskip(SKIP_1) | instid1(VALU_DEP_4)
	v_add_co_u32 v28, vcc_lo, v46, v0
	v_add_co_ci_u32_e32 v29, vcc_lo, v47, v1, vcc_lo
	v_lshlrev_b64 v[0:1], 4, v[2:3]
	v_mov_b32_e32 v34, 0
	v_mov_b32_e32 v35, 0
	v_add_co_u32 v30, vcc_lo, s6, v4
	v_add_co_ci_u32_e32 v31, vcc_lo, s7, v5, vcc_lo
	v_add_co_u32 v32, vcc_lo, s8, v0
	v_add_co_ci_u32_e32 v33, vcc_lo, s9, v1, vcc_lo
	v_dual_mov_b32 v37, v35 :: v_dual_mov_b32 v36, v34
	s_mov_b32 s15, 0
	s_branch .LBB11_13
.LBB11_12:                              ;   in Loop: Header=BB11_13 Depth=2
	s_or_b32 exec_lo, exec_lo, s1
	v_add_co_u32 v26, vcc_lo, v26, 8
	v_add_co_ci_u32_e32 v27, vcc_lo, 0, v27, vcc_lo
	v_add_co_u32 v28, vcc_lo, 0x200, v28
	v_add_co_ci_u32_e32 v29, vcc_lo, 0, v29, vcc_lo
	;; [unrolled: 2-line block ×3, first 2 shown]
	v_cmp_ge_i64_e32 vcc_lo, v[26:27], v[24:25]
	v_add_co_u32 v32, s1, 0x200, v32
	s_delay_alu instid0(VALU_DEP_1) | instskip(SKIP_1) | instid1(SALU_CYCLE_1)
	v_add_co_ci_u32_e64 v33, s1, 0, v33, s1
	s_or_b32 s15, vcc_lo, s15
	s_and_not1_b32 exec_lo, exec_lo, s15
	s_cbranch_execz .LBB11_19
.LBB11_13:                              ;   Parent Loop BB11_10 Depth=1
                                        ; =>  This Inner Loop Header: Depth=2
	v_add_co_u32 v0, vcc_lo, v38, v26
	v_add_co_ci_u32_e32 v1, vcc_lo, 0, v27, vcc_lo
	s_mov_b32 s1, exec_lo
                                        ; implicit-def: $sgpr2_sgpr3
	s_delay_alu instid0(VALU_DEP_1)
	v_cmpx_ge_i64_e64 v[0:1], v[24:25]
	s_xor_b32 s1, exec_lo, s1
	s_cbranch_execz .LBB11_15
; %bb.14:                               ;   in Loop: Header=BB11_13 Depth=2
	v_mov_b32_e32 v17, v16
	s_mov_b64 s[2:3], 0
	ds_store_b64 v41, v[16:17]
.LBB11_15:                              ;   in Loop: Header=BB11_13 Depth=2
	s_or_saveexec_b32 s1, s1
	v_dual_mov_b32 v0, s2 :: v_dual_mov_b32 v1, s3
	v_dual_mov_b32 v2, s2 :: v_dual_mov_b32 v3, s3
	;; [unrolled: 1-line block ×4, first 2 shown]
	s_xor_b32 exec_lo, exec_lo, s1
	s_cbranch_execz .LBB11_17
; %bb.16:                               ;   in Loop: Header=BB11_13 Depth=2
	global_load_b64 v[52:53], v[30:31], off
	global_load_b128 v[0:3], v[28:29], off offset:-8
	global_load_b128 v[4:7], v[32:33], off offset:-8
	s_waitcnt vmcnt(2)
	v_sub_co_u32 v52, vcc_lo, v52, s10
	v_subrev_co_ci_u32_e32 v53, vcc_lo, 0, v53, vcc_lo
	s_delay_alu instid0(VALU_DEP_1)
	v_lshlrev_b64 v[52:53], 1, v[52:53]
	ds_store_b64 v41, v[52:53]
.LBB11_17:                              ;   in Loop: Header=BB11_13 Depth=2
	s_or_b32 exec_lo, exec_lo, s1
	s_waitcnt vmcnt(1)
	ds_store_b128 v42, v[0:3]
	s_waitcnt vmcnt(0)
	ds_store_b128 v42, v[4:7] offset:16
	s_waitcnt lgkmcnt(0)
	s_waitcnt_vscnt null, 0x0
	s_barrier
	buffer_gl0_inv
	s_and_saveexec_b32 s1, s0
	s_cbranch_execz .LBB11_12
; %bb.18:                               ;   in Loop: Header=BB11_13 Depth=2
	ds_load_b128 v[0:3], v39
	ds_load_b128 v[4:7], v39 offset:16
	s_waitcnt lgkmcnt(1)
	v_lshlrev_b64 v[0:1], 4, v[0:1]
	s_waitcnt lgkmcnt(0)
	v_lshlrev_b64 v[4:5], 4, v[4:5]
	s_delay_alu instid0(VALU_DEP_2) | instskip(NEXT) | instid1(VALU_DEP_3)
	v_add_co_u32 v0, vcc_lo, v44, v0
	v_add_co_ci_u32_e32 v1, vcc_lo, v45, v1, vcc_lo
	s_clause 0x1
	global_load_b128 v[52:55], v[0:1], off
	global_load_b128 v[56:59], v[0:1], off offset:16
	v_lshlrev_b64 v[0:1], 4, v[2:3]
	s_delay_alu instid0(VALU_DEP_1) | instskip(NEXT) | instid1(VALU_DEP_2)
	v_add_co_u32 v60, vcc_lo, v44, v0
	v_add_co_ci_u32_e32 v61, vcc_lo, v45, v1, vcc_lo
	v_add_co_u32 v4, vcc_lo, v44, v4
	s_clause 0x1
	global_load_b128 v[0:3], v[60:61], off
	global_load_b128 v[60:63], v[60:61], off offset:16
	v_add_co_ci_u32_e32 v5, vcc_lo, v45, v5, vcc_lo
	ds_load_b128 v[64:67], v43
	ds_load_b128 v[72:75], v43 offset:16
	global_load_b128 v[68:71], v[4:5], off
	s_waitcnt vmcnt(4) lgkmcnt(1)
	v_fma_f64 v[36:37], v[64:65], v[52:53], v[36:37]
	v_fma_f64 v[34:35], v[66:67], v[52:53], v[34:35]
	s_delay_alu instid0(VALU_DEP_2) | instskip(NEXT) | instid1(VALU_DEP_2)
	v_fma_f64 v[52:53], -v[66:67], v[54:55], v[36:37]
	v_fma_f64 v[54:55], v[64:65], v[54:55], v[34:35]
	global_load_b128 v[34:37], v[4:5], off offset:16
	s_waitcnt vmcnt(4) lgkmcnt(0)
	v_fma_f64 v[4:5], v[72:73], v[56:57], v[52:53]
	v_fma_f64 v[52:53], v[74:75], v[56:57], v[54:55]
	s_delay_alu instid0(VALU_DEP_2) | instskip(NEXT) | instid1(VALU_DEP_2)
	v_fma_f64 v[64:65], -v[74:75], v[58:59], v[4:5]
	v_fma_f64 v[66:67], v[72:73], v[58:59], v[52:53]
	v_lshlrev_b64 v[4:5], 4, v[6:7]
	ds_load_b128 v[56:59], v43 offset:64
	v_add_co_u32 v72, vcc_lo, v44, v4
	v_add_co_ci_u32_e32 v73, vcc_lo, v45, v5, vcc_lo
	ds_load_b128 v[4:7], v43 offset:48
	global_load_b128 v[52:55], v[72:73], off
	s_waitcnt vmcnt(4) lgkmcnt(0)
	v_fma_f64 v[64:65], v[4:5], v[0:1], v[64:65]
	v_fma_f64 v[0:1], v[6:7], v[0:1], v[66:67]
	s_delay_alu instid0(VALU_DEP_2) | instskip(NEXT) | instid1(VALU_DEP_2)
	v_fma_f64 v[6:7], -v[6:7], v[2:3], v[64:65]
	v_fma_f64 v[4:5], v[4:5], v[2:3], v[0:1]
	global_load_b128 v[0:3], v[72:73], off offset:16
	ds_load_b128 v[72:75], v43 offset:112
	s_waitcnt vmcnt(4)
	v_fma_f64 v[64:65], v[56:57], v[60:61], v[6:7]
	v_fma_f64 v[60:61], v[58:59], v[60:61], v[4:5]
	ds_load_b128 v[4:7], v39 offset:32
	v_fma_f64 v[76:77], -v[58:59], v[62:63], v[64:65]
	v_fma_f64 v[78:79], v[56:57], v[62:63], v[60:61]
	ds_load_b128 v[56:59], v39 offset:48
	s_waitcnt lgkmcnt(1)
	v_lshlrev_b64 v[4:5], 4, v[4:5]
	ds_load_b128 v[60:63], v43 offset:96
	v_add_co_u32 v4, vcc_lo, v44, v4
	v_add_co_ci_u32_e32 v5, vcc_lo, v45, v5, vcc_lo
	global_load_b128 v[64:67], v[4:5], off
	s_waitcnt vmcnt(4) lgkmcnt(0)
	v_fma_f64 v[76:77], v[60:61], v[68:69], v[76:77]
	v_fma_f64 v[68:69], v[62:63], v[68:69], v[78:79]
	s_delay_alu instid0(VALU_DEP_2) | instskip(NEXT) | instid1(VALU_DEP_2)
	v_fma_f64 v[76:77], -v[62:63], v[70:71], v[76:77]
	v_fma_f64 v[68:69], v[60:61], v[70:71], v[68:69]
	global_load_b128 v[60:63], v[4:5], off offset:16
	s_waitcnt vmcnt(4)
	v_fma_f64 v[4:5], v[72:73], v[34:35], v[76:77]
	v_fma_f64 v[34:35], v[74:75], v[34:35], v[68:69]
	ds_load_b128 v[68:71], v43 offset:160
	v_fma_f64 v[74:75], -v[74:75], v[36:37], v[4:5]
	v_fma_f64 v[72:73], v[72:73], v[36:37], v[34:35]
	v_lshlrev_b64 v[4:5], 4, v[6:7]
	s_delay_alu instid0(VALU_DEP_1) | instskip(NEXT) | instid1(VALU_DEP_2)
	v_add_co_u32 v76, vcc_lo, v44, v4
	v_add_co_ci_u32_e32 v77, vcc_lo, v45, v5, vcc_lo
	ds_load_b128 v[4:7], v43 offset:144
	global_load_b128 v[34:37], v[76:77], off
	s_waitcnt vmcnt(4) lgkmcnt(0)
	v_fma_f64 v[74:75], v[4:5], v[52:53], v[74:75]
	v_fma_f64 v[52:53], v[6:7], v[52:53], v[72:73]
	s_delay_alu instid0(VALU_DEP_2) | instskip(NEXT) | instid1(VALU_DEP_2)
	v_fma_f64 v[72:73], -v[6:7], v[54:55], v[74:75]
	v_fma_f64 v[52:53], v[4:5], v[54:55], v[52:53]
	global_load_b128 v[4:7], v[76:77], off offset:16
	s_waitcnt vmcnt(4)
	v_fma_f64 v[54:55], v[68:69], v[0:1], v[72:73]
	v_fma_f64 v[0:1], v[70:71], v[0:1], v[52:53]
	s_delay_alu instid0(VALU_DEP_2) | instskip(NEXT) | instid1(VALU_DEP_2)
	v_fma_f64 v[72:73], -v[70:71], v[2:3], v[54:55]
	v_fma_f64 v[74:75], v[68:69], v[2:3], v[0:1]
	v_lshlrev_b64 v[0:1], 4, v[56:57]
	ds_load_b128 v[68:71], v43 offset:208
	v_add_co_u32 v56, vcc_lo, v44, v0
	v_add_co_ci_u32_e32 v57, vcc_lo, v45, v1, vcc_lo
	ds_load_b128 v[0:3], v43 offset:192
	global_load_b128 v[52:55], v[56:57], off
	s_waitcnt vmcnt(4) lgkmcnt(0)
	v_fma_f64 v[72:73], v[0:1], v[64:65], v[72:73]
	v_fma_f64 v[64:65], v[2:3], v[64:65], v[74:75]
	s_delay_alu instid0(VALU_DEP_2) | instskip(NEXT) | instid1(VALU_DEP_2)
	v_fma_f64 v[72:73], -v[2:3], v[66:67], v[72:73]
	v_fma_f64 v[64:65], v[0:1], v[66:67], v[64:65]
	global_load_b128 v[0:3], v[56:57], off offset:16
	s_waitcnt vmcnt(4)
	v_fma_f64 v[56:57], v[68:69], v[60:61], v[72:73]
	v_fma_f64 v[60:61], v[70:71], v[60:61], v[64:65]
	ds_load_b128 v[64:67], v43 offset:256
	v_fma_f64 v[70:71], -v[70:71], v[62:63], v[56:57]
	v_fma_f64 v[68:69], v[68:69], v[62:63], v[60:61]
	v_lshlrev_b64 v[56:57], 4, v[58:59]
	s_delay_alu instid0(VALU_DEP_1) | instskip(NEXT) | instid1(VALU_DEP_2)
	v_add_co_u32 v72, vcc_lo, v44, v56
	v_add_co_ci_u32_e32 v73, vcc_lo, v45, v57, vcc_lo
	ds_load_b128 v[56:59], v43 offset:240
	global_load_b128 v[60:63], v[72:73], off
	s_waitcnt vmcnt(4) lgkmcnt(0)
	v_fma_f64 v[70:71], v[56:57], v[34:35], v[70:71]
	v_fma_f64 v[34:35], v[58:59], v[34:35], v[68:69]
	s_delay_alu instid0(VALU_DEP_2) | instskip(NEXT) | instid1(VALU_DEP_2)
	v_fma_f64 v[68:69], -v[58:59], v[36:37], v[70:71]
	v_fma_f64 v[34:35], v[56:57], v[36:37], v[34:35]
	global_load_b128 v[56:59], v[72:73], off offset:16
	s_waitcnt vmcnt(4)
	v_fma_f64 v[36:37], v[64:65], v[4:5], v[68:69]
	v_fma_f64 v[4:5], v[66:67], v[4:5], v[34:35]
	s_delay_alu instid0(VALU_DEP_2) | instskip(NEXT) | instid1(VALU_DEP_2)
	v_fma_f64 v[66:67], -v[66:67], v[6:7], v[36:37]
	v_fma_f64 v[64:65], v[64:65], v[6:7], v[4:5]
	ds_load_b128 v[4:7], v43 offset:288
	ds_load_b128 v[34:37], v43 offset:304
	s_waitcnt vmcnt(3) lgkmcnt(1)
	v_fma_f64 v[66:67], v[4:5], v[52:53], v[66:67]
	v_fma_f64 v[52:53], v[6:7], v[52:53], v[64:65]
	s_delay_alu instid0(VALU_DEP_2) | instskip(NEXT) | instid1(VALU_DEP_2)
	v_fma_f64 v[6:7], -v[6:7], v[54:55], v[66:67]
	v_fma_f64 v[4:5], v[4:5], v[54:55], v[52:53]
	s_waitcnt vmcnt(2) lgkmcnt(0)
	s_delay_alu instid0(VALU_DEP_2) | instskip(NEXT) | instid1(VALU_DEP_2)
	v_fma_f64 v[6:7], v[34:35], v[0:1], v[6:7]
	v_fma_f64 v[0:1], v[36:37], v[0:1], v[4:5]
	s_delay_alu instid0(VALU_DEP_2) | instskip(NEXT) | instid1(VALU_DEP_2)
	v_fma_f64 v[36:37], -v[36:37], v[2:3], v[6:7]
	v_fma_f64 v[34:35], v[34:35], v[2:3], v[0:1]
	ds_load_b128 v[0:3], v43 offset:336
	ds_load_b128 v[4:7], v43 offset:352
	s_waitcnt vmcnt(1) lgkmcnt(1)
	v_fma_f64 v[36:37], v[0:1], v[60:61], v[36:37]
	v_fma_f64 v[34:35], v[2:3], v[60:61], v[34:35]
	s_delay_alu instid0(VALU_DEP_2) | instskip(NEXT) | instid1(VALU_DEP_2)
	v_fma_f64 v[2:3], -v[2:3], v[62:63], v[36:37]
	v_fma_f64 v[0:1], v[0:1], v[62:63], v[34:35]
	s_waitcnt vmcnt(0) lgkmcnt(0)
	s_delay_alu instid0(VALU_DEP_2) | instskip(NEXT) | instid1(VALU_DEP_2)
	v_fma_f64 v[2:3], v[4:5], v[56:57], v[2:3]
	v_fma_f64 v[0:1], v[6:7], v[56:57], v[0:1]
	s_delay_alu instid0(VALU_DEP_2) | instskip(NEXT) | instid1(VALU_DEP_2)
	v_fma_f64 v[36:37], -v[6:7], v[58:59], v[2:3]
	v_fma_f64 v[34:35], v[4:5], v[58:59], v[0:1]
	s_branch .LBB11_12
.LBB11_19:                              ;   in Loop: Header=BB11_10 Depth=1
	s_or_b32 exec_lo, exec_lo, s15
.LBB11_20:                              ;   in Loop: Header=BB11_10 Depth=1
	s_delay_alu instid0(SALU_CYCLE_1)
	s_or_b32 exec_lo, exec_lo, s11
	s_and_saveexec_b32 s1, s0
	s_cbranch_execz .LBB11_9
; %bb.21:                               ;   in Loop: Header=BB11_10 Depth=1
	v_mul_f64 v[0:1], v[34:35], -v[10:11]
	v_mul_f64 v[2:3], v[8:9], v[34:35]
	s_delay_alu instid0(VALU_DEP_2) | instskip(NEXT) | instid1(VALU_DEP_2)
	v_fma_f64 v[0:1], v[8:9], v[36:37], v[0:1]
	v_fma_f64 v[2:3], v[10:11], v[36:37], v[2:3]
	s_and_saveexec_b32 s2, s13
	s_delay_alu instid0(SALU_CYCLE_1)
	s_xor_b32 s2, exec_lo, s2
	s_cbranch_execz .LBB11_26
; %bb.22:                               ;   in Loop: Header=BB11_10 Depth=1
	s_and_b32 vcc_lo, exec_lo, s14
	s_mov_b32 s3, -1
	s_cbranch_vccz .LBB11_24
; %bb.23:                               ;   in Loop: Header=BB11_10 Depth=1
	global_load_b128 v[4:7], v[20:21], off
	s_mov_b32 s3, 0
	s_waitcnt vmcnt(0)
	v_fma_f64 v[24:25], v[12:13], v[4:5], v[0:1]
	v_fma_f64 v[26:27], v[14:15], v[4:5], v[2:3]
	s_delay_alu instid0(VALU_DEP_2) | instskip(NEXT) | instid1(VALU_DEP_2)
	v_fma_f64 v[4:5], -v[14:15], v[6:7], v[24:25]
	v_fma_f64 v[6:7], v[12:13], v[6:7], v[26:27]
	global_store_b128 v[20:21], v[4:7], off
.LBB11_24:                              ;   in Loop: Header=BB11_10 Depth=1
	s_and_not1_b32 vcc_lo, exec_lo, s3
	s_cbranch_vccnz .LBB11_26
; %bb.25:                               ;   in Loop: Header=BB11_10 Depth=1
	global_load_b128 v[4:7], v[22:23], off
	s_waitcnt vmcnt(0)
	v_fma_f64 v[0:1], v[12:13], v[4:5], v[0:1]
	v_fma_f64 v[2:3], v[14:15], v[4:5], v[2:3]
	s_delay_alu instid0(VALU_DEP_2) | instskip(NEXT) | instid1(VALU_DEP_2)
	v_fma_f64 v[0:1], -v[14:15], v[6:7], v[0:1]
	v_fma_f64 v[2:3], v[12:13], v[6:7], v[2:3]
	global_store_b128 v[22:23], v[0:3], off
                                        ; implicit-def: $vgpr0_vgpr1
.LBB11_26:                              ;   in Loop: Header=BB11_10 Depth=1
	s_and_not1_saveexec_b32 s2, s2
	s_cbranch_execz .LBB11_9
; %bb.27:                               ;   in Loop: Header=BB11_10 Depth=1
	s_and_b32 vcc_lo, exec_lo, s14
	s_mov_b32 s2, -1
	s_cbranch_vccz .LBB11_29
; %bb.28:                               ;   in Loop: Header=BB11_10 Depth=1
	s_mov_b32 s2, 0
	global_store_b128 v[20:21], v[0:3], off
.LBB11_29:                              ;   in Loop: Header=BB11_10 Depth=1
	s_and_not1_b32 vcc_lo, exec_lo, s2
	s_cbranch_vccnz .LBB11_9
; %bb.30:                               ;   in Loop: Header=BB11_10 Depth=1
	global_store_b128 v[22:23], v[0:3], off
	s_branch .LBB11_9
.LBB11_31:
	s_endpgm
	.section	.rodata,"a",@progbits
	.p2align	6, 0x0
	.amdhsa_kernel _ZN9rocsparseL29bsrmmnn_small_blockdim_kernelILj64ELj8ELj2Ell21rocsparse_complex_numIdES2_S2_S2_EEv20rocsparse_direction_T3_S4_llNS_24const_host_device_scalarIT7_EEPKT2_PKS4_PKT4_PKT5_llS7_PT6_ll16rocsparse_order_21rocsparse_index_base_b
		.amdhsa_group_segment_fixed_size 4096
		.amdhsa_private_segment_fixed_size 16
		.amdhsa_kernarg_size 416
		.amdhsa_user_sgpr_count 14
		.amdhsa_user_sgpr_dispatch_ptr 1
		.amdhsa_user_sgpr_queue_ptr 0
		.amdhsa_user_sgpr_kernarg_segment_ptr 1
		.amdhsa_user_sgpr_dispatch_id 0
		.amdhsa_user_sgpr_private_segment_size 0
		.amdhsa_wavefront_size32 1
		.amdhsa_uses_dynamic_stack 0
		.amdhsa_enable_private_segment 1
		.amdhsa_system_sgpr_workgroup_id_x 1
		.amdhsa_system_sgpr_workgroup_id_y 1
		.amdhsa_system_sgpr_workgroup_id_z 0
		.amdhsa_system_sgpr_workgroup_info 0
		.amdhsa_system_vgpr_workitem_id 2
		.amdhsa_next_free_vgpr 80
		.amdhsa_next_free_sgpr 28
		.amdhsa_reserve_vcc 1
		.amdhsa_float_round_mode_32 0
		.amdhsa_float_round_mode_16_64 0
		.amdhsa_float_denorm_mode_32 3
		.amdhsa_float_denorm_mode_16_64 3
		.amdhsa_dx10_clamp 1
		.amdhsa_ieee_mode 1
		.amdhsa_fp16_overflow 0
		.amdhsa_workgroup_processor_mode 1
		.amdhsa_memory_ordered 1
		.amdhsa_forward_progress 0
		.amdhsa_shared_vgpr_count 0
		.amdhsa_exception_fp_ieee_invalid_op 0
		.amdhsa_exception_fp_denorm_src 0
		.amdhsa_exception_fp_ieee_div_zero 0
		.amdhsa_exception_fp_ieee_overflow 0
		.amdhsa_exception_fp_ieee_underflow 0
		.amdhsa_exception_fp_ieee_inexact 0
		.amdhsa_exception_int_div_zero 0
	.end_amdhsa_kernel
	.section	.text._ZN9rocsparseL29bsrmmnn_small_blockdim_kernelILj64ELj8ELj2Ell21rocsparse_complex_numIdES2_S2_S2_EEv20rocsparse_direction_T3_S4_llNS_24const_host_device_scalarIT7_EEPKT2_PKS4_PKT4_PKT5_llS7_PT6_ll16rocsparse_order_21rocsparse_index_base_b,"axG",@progbits,_ZN9rocsparseL29bsrmmnn_small_blockdim_kernelILj64ELj8ELj2Ell21rocsparse_complex_numIdES2_S2_S2_EEv20rocsparse_direction_T3_S4_llNS_24const_host_device_scalarIT7_EEPKT2_PKS4_PKT4_PKT5_llS7_PT6_ll16rocsparse_order_21rocsparse_index_base_b,comdat
.Lfunc_end11:
	.size	_ZN9rocsparseL29bsrmmnn_small_blockdim_kernelILj64ELj8ELj2Ell21rocsparse_complex_numIdES2_S2_S2_EEv20rocsparse_direction_T3_S4_llNS_24const_host_device_scalarIT7_EEPKT2_PKS4_PKT4_PKT5_llS7_PT6_ll16rocsparse_order_21rocsparse_index_base_b, .Lfunc_end11-_ZN9rocsparseL29bsrmmnn_small_blockdim_kernelILj64ELj8ELj2Ell21rocsparse_complex_numIdES2_S2_S2_EEv20rocsparse_direction_T3_S4_llNS_24const_host_device_scalarIT7_EEPKT2_PKS4_PKT4_PKT5_llS7_PT6_ll16rocsparse_order_21rocsparse_index_base_b
                                        ; -- End function
	.section	.AMDGPU.csdata,"",@progbits
; Kernel info:
; codeLenInByte = 2872
; NumSgprs: 30
; NumVgprs: 80
; ScratchSize: 16
; MemoryBound: 1
; FloatMode: 240
; IeeeMode: 1
; LDSByteSize: 4096 bytes/workgroup (compile time only)
; SGPRBlocks: 3
; VGPRBlocks: 9
; NumSGPRsForWavesPerEU: 30
; NumVGPRsForWavesPerEU: 80
; Occupancy: 16
; WaveLimiterHint : 1
; COMPUTE_PGM_RSRC2:SCRATCH_EN: 1
; COMPUTE_PGM_RSRC2:USER_SGPR: 14
; COMPUTE_PGM_RSRC2:TRAP_HANDLER: 0
; COMPUTE_PGM_RSRC2:TGID_X_EN: 1
; COMPUTE_PGM_RSRC2:TGID_Y_EN: 1
; COMPUTE_PGM_RSRC2:TGID_Z_EN: 0
; COMPUTE_PGM_RSRC2:TIDIG_COMP_CNT: 2
	.section	.text._ZN9rocsparseL29bsrmmnn_small_blockdim_kernelILj64ELj8ELj2EiiDF16_DF16_ffEEv20rocsparse_direction_T3_S2_llNS_24const_host_device_scalarIT7_EEPKT2_PKS2_PKT4_PKT5_llS5_PT6_ll16rocsparse_order_21rocsparse_index_base_b,"axG",@progbits,_ZN9rocsparseL29bsrmmnn_small_blockdim_kernelILj64ELj8ELj2EiiDF16_DF16_ffEEv20rocsparse_direction_T3_S2_llNS_24const_host_device_scalarIT7_EEPKT2_PKS2_PKT4_PKT5_llS5_PT6_ll16rocsparse_order_21rocsparse_index_base_b,comdat
	.globl	_ZN9rocsparseL29bsrmmnn_small_blockdim_kernelILj64ELj8ELj2EiiDF16_DF16_ffEEv20rocsparse_direction_T3_S2_llNS_24const_host_device_scalarIT7_EEPKT2_PKS2_PKT4_PKT5_llS5_PT6_ll16rocsparse_order_21rocsparse_index_base_b ; -- Begin function _ZN9rocsparseL29bsrmmnn_small_blockdim_kernelILj64ELj8ELj2EiiDF16_DF16_ffEEv20rocsparse_direction_T3_S2_llNS_24const_host_device_scalarIT7_EEPKT2_PKS2_PKT4_PKT5_llS5_PT6_ll16rocsparse_order_21rocsparse_index_base_b
	.p2align	8
	.type	_ZN9rocsparseL29bsrmmnn_small_blockdim_kernelILj64ELj8ELj2EiiDF16_DF16_ffEEv20rocsparse_direction_T3_S2_llNS_24const_host_device_scalarIT7_EEPKT2_PKS2_PKT4_PKT5_llS5_PT6_ll16rocsparse_order_21rocsparse_index_base_b,@function
_ZN9rocsparseL29bsrmmnn_small_blockdim_kernelILj64ELj8ELj2EiiDF16_DF16_ffEEv20rocsparse_direction_T3_S2_llNS_24const_host_device_scalarIT7_EEPKT2_PKS2_PKT4_PKT5_llS5_PT6_ll16rocsparse_order_21rocsparse_index_base_b: ; @_ZN9rocsparseL29bsrmmnn_small_blockdim_kernelILj64ELj8ELj2EiiDF16_DF16_ffEEv20rocsparse_direction_T3_S2_llNS_24const_host_device_scalarIT7_EEPKT2_PKS2_PKT4_PKT5_llS5_PT6_ll16rocsparse_order_21rocsparse_index_base_b
; %bb.0:
	s_clause 0x2
	s_load_b128 s[16:19], s[0:1], 0x78
	s_load_b64 s[2:3], s[0:1], 0x20
	s_load_b64 s[12:13], s[0:1], 0x58
	s_waitcnt lgkmcnt(0)
	s_bitcmp1_b32 s18, 0
	s_cselect_b32 s4, -1, 0
	s_delay_alu instid0(SALU_CYCLE_1)
	s_and_b32 vcc_lo, exec_lo, s4
	s_xor_b32 s4, s4, -1
	s_cbranch_vccnz .LBB12_2
; %bb.1:
	s_load_b32 s2, s[2:3], 0x0
.LBB12_2:
	s_and_not1_b32 vcc_lo, exec_lo, s4
	s_cbranch_vccnz .LBB12_4
; %bb.3:
	s_load_b32 s12, s[12:13], 0x0
.LBB12_4:
	s_waitcnt lgkmcnt(0)
	v_cmp_eq_f32_e64 s3, s2, 0
	v_cmp_eq_f32_e64 s4, s12, 1.0
	s_delay_alu instid0(VALU_DEP_1) | instskip(NEXT) | instid1(SALU_CYCLE_1)
	s_and_b32 s3, s3, s4
	s_and_b32 vcc_lo, exec_lo, s3
	s_cbranch_vccnz .LBB12_28
; %bb.5:
	s_clause 0x1
	s_load_b32 s3, s[0:1], 0x88
	s_load_b128 s[20:23], s[0:1], 0x0
	s_add_u32 s4, s0, 0x88
	s_addc_u32 s5, s1, 0
	v_mov_b32_e32 v1, 0
	s_waitcnt lgkmcnt(0)
	s_cmp_lt_u32 s14, s3
	s_cselect_b32 s6, 12, 18
	s_delay_alu instid0(SALU_CYCLE_1)
	s_add_u32 s4, s4, s6
	s_addc_u32 s5, s5, 0
	global_load_u16 v5, v1, s[4:5]
	s_mov_b32 s4, exec_lo
	s_waitcnt vmcnt(0)
	v_mad_u64_u32 v[3:4], null, s14, v5, v[0:1]
	s_delay_alu instid0(VALU_DEP_1) | instskip(NEXT) | instid1(VALU_DEP_1)
	v_lshrrev_b32_e32 v2, 4, v3
	v_cmpx_gt_i32_e64 s21, v2
	s_cbranch_execz .LBB12_28
; %bb.6:
	s_clause 0x2
	s_load_b128 s[24:27], s[0:1], 0x60
	s_load_b64 s[18:19], s[0:1], 0x48
	s_load_b256 s[4:11], s[0:1], 0x28
	v_and_b32_e32 v10, 7, v3
	v_lshrrev_b32_e32 v9, 3, v3
	v_mul_lo_u32 v7, s3, v5
	v_bfe_u32 v20, v3, 3, 1
	v_lshrrev_b32_e32 v15, 3, v0
	v_lshl_or_b32 v3, s15, 3, v10
	v_mul_u32_u24_e32 v0, 3, v10
	s_cmp_lg_u32 s16, 1
	v_cmp_neq_f32_e64 s1, s12, 0
	s_cselect_b32 s3, -1, 0
	v_ashrrev_i32_e32 v4, 31, v3
	v_lshrrev_b32_e32 v13, 4, v7
	v_cmp_gt_i32_e64 s0, s22, v3
	s_cmp_eq_u32 s20, 0
	v_lshl_add_u32 v11, v15, 5, 0x180
	v_mul_u32_u24_e32 v12, 48, v15
	s_waitcnt lgkmcnt(0)
	v_mad_u64_u32 v[5:6], null, v9, s26, 0
	v_lshlrev_b32_e32 v21, 1, v0
	v_mul_lo_u32 v22, v4, s18
	v_mul_lo_u32 v23, v3, s19
	v_mad_u64_u32 v[7:8], null, v3, s18, 0
	v_mul_lo_u32 v24, v4, s26
	v_mov_b32_e32 v0, v6
	v_mul_lo_u32 v6, v3, s27
	v_mad_u64_u32 v[16:17], null, v3, s26, 0
	v_lshlrev_b64 v[3:4], 2, v[3:4]
	s_delay_alu instid0(VALU_DEP_4)
	v_mad_u64_u32 v[18:19], null, v9, s27, v[0:1]
	v_add3_u32 v8, v8, v23, v22
	v_lshl_or_b32 v14, v10, 2, v11
	v_mad_u32_u24 v15, v15, 48, v21
	v_add3_u32 v17, v17, v6, v24
	v_add_co_u32 v0, vcc_lo, s24, v3
	v_mov_b32_e32 v6, v18
	v_lshlrev_b64 v[7:8], 1, v[7:8]
	v_add_co_ci_u32_e32 v3, vcc_lo, s25, v4, vcc_lo
	v_lshlrev_b64 v[18:19], 2, v[16:17]
	s_delay_alu instid0(VALU_DEP_4) | instskip(NEXT) | instid1(VALU_DEP_4)
	v_lshlrev_b64 v[4:5], 2, v[5:6]
	v_add_co_u32 v16, vcc_lo, s10, v7
	v_add_co_ci_u32_e32 v17, vcc_lo, s11, v8, vcc_lo
	s_delay_alu instid0(VALU_DEP_3) | instskip(NEXT) | instid1(VALU_DEP_4)
	v_add_co_u32 v4, vcc_lo, v0, v4
	v_add_co_ci_u32_e32 v5, vcc_lo, v3, v5, vcc_lo
	v_lshlrev_b32_e32 v0, 2, v9
	v_add_co_u32 v3, vcc_lo, s24, v18
	s_cselect_b32 s11, -1, 0
	v_add_co_ci_u32_e32 v7, vcc_lo, s25, v19, vcc_lo
	v_cndmask_b32_e64 v8, 0, 1, s11
	s_delay_alu instid0(VALU_DEP_3) | instskip(NEXT) | instid1(VALU_DEP_3)
	v_add_co_u32 v6, vcc_lo, v3, v0
	v_add_co_ci_u32_e32 v7, vcc_lo, 0, v7, vcc_lo
	s_delay_alu instid0(VALU_DEP_3)
	v_lshlrev_b32_e32 v18, v8, v20
	v_subrev_nc_u32_e32 v19, s17, v10
	s_and_b32 s11, s11, exec_lo
	s_mov_b32 s10, 0
	s_cselect_b32 s11, 1, 2
	s_branch .LBB12_8
.LBB12_7:                               ;   in Loop: Header=BB12_8 Depth=1
	s_or_b32 exec_lo, exec_lo, s13
	v_add_nc_u32_e32 v2, v2, v13
	s_delay_alu instid0(VALU_DEP_1) | instskip(SKIP_1) | instid1(SALU_CYCLE_1)
	v_cmp_le_i32_e32 vcc_lo, s21, v2
	s_or_b32 s10, vcc_lo, s10
	s_and_not1_b32 exec_lo, exec_lo, s10
	s_cbranch_execz .LBB12_28
.LBB12_8:                               ; =>This Loop Header: Depth=1
                                        ;     Child Loop BB12_11 Depth 2
	v_mov_b32_e32 v3, v1
	s_mov_b32 s13, exec_lo
	s_delay_alu instid0(VALU_DEP_1) | instskip(SKIP_1) | instid1(VALU_DEP_2)
	v_lshlrev_b64 v[8:9], 2, v[2:3]
	v_mov_b32_e32 v3, 0
	v_add_co_u32 v8, vcc_lo, s4, v8
	s_delay_alu instid0(VALU_DEP_3)
	v_add_co_ci_u32_e32 v9, vcc_lo, s5, v9, vcc_lo
	global_load_b64 v[8:9], v[8:9], off
	s_waitcnt vmcnt(0)
	v_cmpx_lt_i32_e64 v8, v9
	s_cbranch_execz .LBB12_16
; %bb.9:                                ;   in Loop: Header=BB12_8 Depth=1
	v_dual_mov_b32 v3, 0 :: v_dual_add_nc_u32 v0, v19, v8
	v_subrev_nc_u32_e32 v20, s17, v9
	v_subrev_nc_u32_e32 v21, s17, v8
	s_mov_b32 s14, 0
	s_delay_alu instid0(VALU_DEP_3)
	v_lshl_or_b32 v0, v0, 2, v18
	s_branch .LBB12_11
.LBB12_10:                              ;   in Loop: Header=BB12_11 Depth=2
	s_or_b32 exec_lo, exec_lo, s15
	v_add_nc_u32_e32 v21, 8, v21
	v_add_nc_u32_e32 v0, 32, v0
	s_delay_alu instid0(VALU_DEP_2) | instskip(SKIP_1) | instid1(SALU_CYCLE_1)
	v_cmp_ge_i32_e32 vcc_lo, v21, v20
	s_or_b32 s14, vcc_lo, s14
	s_and_not1_b32 exec_lo, exec_lo, s14
	s_cbranch_execz .LBB12_15
.LBB12_11:                              ;   Parent Loop BB12_8 Depth=1
                                        ; =>  This Inner Loop Header: Depth=2
	s_delay_alu instid0(VALU_DEP_2) | instskip(SKIP_2) | instid1(VALU_DEP_2)
	v_dual_mov_b32 v9, 0 :: v_dual_add_nc_u32 v8, v10, v21
	v_mov_b32_e32 v22, 0
	s_mov_b32 s15, exec_lo
	v_cmpx_lt_i32_e64 v8, v20
	s_cbranch_execz .LBB12_13
; %bb.12:                               ;   in Loop: Header=BB12_11 Depth=2
	v_lshlrev_b64 v[22:23], 1, v[0:1]
	v_ashrrev_i32_e32 v9, 31, v8
	v_mov_b32_e32 v24, v1
	s_delay_alu instid0(VALU_DEP_3) | instskip(NEXT) | instid1(VALU_DEP_4)
	v_add_co_u32 v22, vcc_lo, s8, v22
	v_add_co_ci_u32_e32 v23, vcc_lo, s9, v23, vcc_lo
	s_delay_alu instid0(VALU_DEP_4) | instskip(SKIP_4) | instid1(VALU_DEP_3)
	v_lshlrev_b64 v[8:9], 2, v[8:9]
	global_load_u16 v22, v[22:23], off
	v_add_nc_u32_e32 v23, s11, v0
	v_add_co_u32 v8, vcc_lo, s6, v8
	v_add_co_ci_u32_e32 v9, vcc_lo, s7, v9, vcc_lo
	v_lshlrev_b64 v[23:24], 1, v[23:24]
	global_load_b32 v25, v[8:9], off
	v_add_co_u32 v8, vcc_lo, s8, v23
	v_add_co_ci_u32_e32 v9, vcc_lo, s9, v24, vcc_lo
	global_load_d16_hi_b16 v22, v[8:9], off
	s_waitcnt vmcnt(1)
	v_subrev_nc_u32_e32 v8, s17, v25
	s_delay_alu instid0(VALU_DEP_1)
	v_lshlrev_b32_e32 v9, 1, v8
.LBB12_13:                              ;   in Loop: Header=BB12_11 Depth=2
	s_or_b32 exec_lo, exec_lo, s15
	ds_store_b32 v14, v9
	s_waitcnt vmcnt(0)
	ds_store_b32 v15, v22
	s_waitcnt lgkmcnt(0)
	s_waitcnt_vscnt null, 0x0
	s_barrier
	buffer_gl0_inv
	s_and_saveexec_b32 s15, s0
	s_cbranch_execz .LBB12_10
; %bb.14:                               ;   in Loop: Header=BB12_11 Depth=2
	ds_load_b128 v[22:25], v11
	ds_load_b128 v[26:29], v11 offset:16
	s_waitcnt lgkmcnt(1)
	v_ashrrev_i32_e32 v9, 31, v22
	v_mov_b32_e32 v8, v22
	v_ashrrev_i32_e32 v31, 31, v23
	v_mov_b32_e32 v22, v24
	;; [unrolled: 2-line block ×3, first 2 shown]
	v_lshlrev_b64 v[8:9], 1, v[8:9]
	s_waitcnt lgkmcnt(0)
	v_ashrrev_i32_e32 v25, 31, v26
	s_delay_alu instid0(VALU_DEP_2) | instskip(NEXT) | instid1(VALU_DEP_3)
	v_add_co_u32 v8, vcc_lo, v16, v8
	v_add_co_ci_u32_e32 v9, vcc_lo, v17, v9, vcc_lo
	global_load_b32 v34, v[8:9], off
	v_mov_b32_e32 v30, v23
	v_ashrrev_i32_e32 v23, 31, v24
	v_mov_b32_e32 v24, v26
	v_ashrrev_i32_e32 v26, 31, v29
	s_delay_alu instid0(VALU_DEP_4) | instskip(NEXT) | instid1(VALU_DEP_4)
	v_lshlrev_b64 v[30:31], 1, v[30:31]
	v_lshlrev_b64 v[22:23], 1, v[22:23]
	s_delay_alu instid0(VALU_DEP_4) | instskip(NEXT) | instid1(VALU_DEP_3)
	v_lshlrev_b64 v[24:25], 1, v[24:25]
	v_add_co_u32 v8, vcc_lo, v16, v30
	s_delay_alu instid0(VALU_DEP_4)
	v_add_co_ci_u32_e32 v9, vcc_lo, v17, v31, vcc_lo
	v_ashrrev_i32_e32 v31, 31, v27
	v_mov_b32_e32 v30, v27
	v_add_co_u32 v22, vcc_lo, v16, v22
	global_load_b32 v27, v[8:9], off
	v_lshlrev_b64 v[8:9], 1, v[32:33]
	v_add_co_ci_u32_e32 v23, vcc_lo, v17, v23, vcc_lo
	s_delay_alu instid0(VALU_DEP_2) | instskip(NEXT) | instid1(VALU_DEP_3)
	v_add_co_u32 v8, vcc_lo, v16, v8
	v_add_co_ci_u32_e32 v9, vcc_lo, v17, v9, vcc_lo
	v_add_co_u32 v24, vcc_lo, v16, v24
	global_load_b32 v32, v[22:23], off
	v_add_co_ci_u32_e32 v25, vcc_lo, v17, v25, vcc_lo
	v_ashrrev_i32_e32 v23, 31, v28
	v_mov_b32_e32 v22, v28
	s_clause 0x1
	global_load_b32 v28, v[8:9], off
	global_load_b32 v24, v[24:25], off
	v_lshlrev_b64 v[8:9], 1, v[30:31]
	v_mov_b32_e32 v25, v29
	v_lshlrev_b64 v[22:23], 1, v[22:23]
	s_delay_alu instid0(VALU_DEP_3) | instskip(NEXT) | instid1(VALU_DEP_4)
	v_add_co_u32 v8, vcc_lo, v16, v8
	v_add_co_ci_u32_e32 v9, vcc_lo, v17, v9, vcc_lo
	s_delay_alu instid0(VALU_DEP_3) | instskip(NEXT) | instid1(VALU_DEP_4)
	v_add_co_u32 v22, vcc_lo, v16, v22
	v_add_co_ci_u32_e32 v23, vcc_lo, v17, v23, vcc_lo
	global_load_b32 v29, v[8:9], off
	v_lshlrev_b64 v[8:9], 1, v[25:26]
	s_delay_alu instid0(VALU_DEP_1) | instskip(NEXT) | instid1(VALU_DEP_2)
	v_add_co_u32 v8, vcc_lo, v16, v8
	v_add_co_ci_u32_e32 v9, vcc_lo, v17, v9, vcc_lo
	s_clause 0x1
	global_load_b32 v25, v[22:23], off
	global_load_b32 v26, v[8:9], off
	ds_load_2addr_b32 v[8:9], v12 offset1:3
	ds_load_u16 v22, v12 offset:6
	ds_load_u16 v30, v12 offset:8
	s_waitcnt vmcnt(7) lgkmcnt(2)
	v_dot2acc_f32_f16 v3, v8, v34
	ds_load_u16 v8, v12 offset:18
	ds_load_u16 v31, v12 offset:20
	;; [unrolled: 1-line block ×6, first 2 shown]
	s_waitcnt vmcnt(6) lgkmcnt(7)
	v_fma_mix_f32 v3, v22, v27, v3 op_sel_hi:[1,1,0]
	ds_load_2addr_b32 v[22:23], v12 offset0:6 offset1:9
	s_waitcnt lgkmcnt(7)
	v_fma_mix_f32 v3, v30, v27, v3 op_sel:[0,1,0] op_sel_hi:[1,1,0]
	s_waitcnt vmcnt(5)
	s_delay_alu instid0(VALU_DEP_1) | instskip(SKIP_1) | instid1(VALU_DEP_1)
	v_dot2acc_f32_f16 v3, v9, v32
	s_waitcnt vmcnt(4) lgkmcnt(6)
	v_fma_mix_f32 v3, v8, v28, v3 op_sel_hi:[1,1,0]
	s_waitcnt lgkmcnt(5)
	s_delay_alu instid0(VALU_DEP_1) | instskip(SKIP_1) | instid1(VALU_DEP_1)
	v_fma_mix_f32 v3, v31, v28, v3 op_sel:[0,1,0] op_sel_hi:[1,1,0]
	s_waitcnt vmcnt(3) lgkmcnt(0)
	v_dot2acc_f32_f16 v3, v22, v24
	s_waitcnt vmcnt(2)
	s_delay_alu instid0(VALU_DEP_1) | instskip(NEXT) | instid1(VALU_DEP_1)
	v_fma_mix_f32 v3, v33, v29, v3 op_sel_hi:[1,1,0]
	v_fma_mix_f32 v3, v34, v29, v3 op_sel:[0,1,0] op_sel_hi:[1,1,0]
	s_waitcnt vmcnt(1)
	s_delay_alu instid0(VALU_DEP_1) | instskip(SKIP_1) | instid1(VALU_DEP_1)
	v_dot2acc_f32_f16 v3, v23, v25
	s_waitcnt vmcnt(0)
	v_fma_mix_f32 v3, v35, v26, v3 op_sel_hi:[1,1,0]
	s_delay_alu instid0(VALU_DEP_1)
	v_fma_mix_f32 v3, v36, v26, v3 op_sel:[0,1,0] op_sel_hi:[1,1,0]
	s_branch .LBB12_10
.LBB12_15:                              ;   in Loop: Header=BB12_8 Depth=1
	s_or_b32 exec_lo, exec_lo, s14
.LBB12_16:                              ;   in Loop: Header=BB12_8 Depth=1
	s_delay_alu instid0(SALU_CYCLE_1)
	s_or_b32 exec_lo, exec_lo, s13
	s_and_saveexec_b32 s13, s0
	s_cbranch_execz .LBB12_7
; %bb.17:                               ;   in Loop: Header=BB12_8 Depth=1
	v_mul_f32_e32 v0, s2, v3
	s_and_b32 vcc_lo, exec_lo, s1
	s_cbranch_vccz .LBB12_23
; %bb.18:                               ;   in Loop: Header=BB12_8 Depth=1
	s_and_b32 vcc_lo, exec_lo, s3
	s_mov_b32 s14, -1
	s_cbranch_vccz .LBB12_20
; %bb.19:                               ;   in Loop: Header=BB12_8 Depth=1
	global_load_b32 v3, v[4:5], off
	s_mov_b32 s14, 0
	s_waitcnt vmcnt(0)
	v_fma_f32 v3, s12, v3, v0
	global_store_b32 v[4:5], v3, off
.LBB12_20:                              ;   in Loop: Header=BB12_8 Depth=1
	s_and_not1_b32 vcc_lo, exec_lo, s14
	s_cbranch_vccnz .LBB12_22
; %bb.21:                               ;   in Loop: Header=BB12_8 Depth=1
	global_load_b32 v3, v[6:7], off
	s_waitcnt vmcnt(0)
	v_fma_f32 v3, s12, v3, v0
	global_store_b32 v[6:7], v3, off
.LBB12_22:                              ;   in Loop: Header=BB12_8 Depth=1
	s_cbranch_execnz .LBB12_7
	s_branch .LBB12_24
.LBB12_23:                              ;   in Loop: Header=BB12_8 Depth=1
.LBB12_24:                              ;   in Loop: Header=BB12_8 Depth=1
	s_and_b32 vcc_lo, exec_lo, s3
	s_mov_b32 s14, -1
	s_cbranch_vccz .LBB12_26
; %bb.25:                               ;   in Loop: Header=BB12_8 Depth=1
	s_mov_b32 s14, 0
	global_store_b32 v[4:5], v0, off
.LBB12_26:                              ;   in Loop: Header=BB12_8 Depth=1
	s_and_not1_b32 vcc_lo, exec_lo, s14
	s_cbranch_vccnz .LBB12_7
; %bb.27:                               ;   in Loop: Header=BB12_8 Depth=1
	global_store_b32 v[6:7], v0, off
	s_branch .LBB12_7
.LBB12_28:
	s_nop 0
	s_sendmsg sendmsg(MSG_DEALLOC_VGPRS)
	s_endpgm
	.section	.rodata,"a",@progbits
	.p2align	6, 0x0
	.amdhsa_kernel _ZN9rocsparseL29bsrmmnn_small_blockdim_kernelILj64ELj8ELj2EiiDF16_DF16_ffEEv20rocsparse_direction_T3_S2_llNS_24const_host_device_scalarIT7_EEPKT2_PKS2_PKT4_PKT5_llS5_PT6_ll16rocsparse_order_21rocsparse_index_base_b
		.amdhsa_group_segment_fixed_size 640
		.amdhsa_private_segment_fixed_size 0
		.amdhsa_kernarg_size 392
		.amdhsa_user_sgpr_count 14
		.amdhsa_user_sgpr_dispatch_ptr 0
		.amdhsa_user_sgpr_queue_ptr 0
		.amdhsa_user_sgpr_kernarg_segment_ptr 1
		.amdhsa_user_sgpr_dispatch_id 0
		.amdhsa_user_sgpr_private_segment_size 0
		.amdhsa_wavefront_size32 1
		.amdhsa_uses_dynamic_stack 0
		.amdhsa_enable_private_segment 0
		.amdhsa_system_sgpr_workgroup_id_x 1
		.amdhsa_system_sgpr_workgroup_id_y 1
		.amdhsa_system_sgpr_workgroup_id_z 0
		.amdhsa_system_sgpr_workgroup_info 0
		.amdhsa_system_vgpr_workitem_id 0
		.amdhsa_next_free_vgpr 37
		.amdhsa_next_free_sgpr 28
		.amdhsa_reserve_vcc 1
		.amdhsa_float_round_mode_32 0
		.amdhsa_float_round_mode_16_64 0
		.amdhsa_float_denorm_mode_32 3
		.amdhsa_float_denorm_mode_16_64 3
		.amdhsa_dx10_clamp 1
		.amdhsa_ieee_mode 1
		.amdhsa_fp16_overflow 0
		.amdhsa_workgroup_processor_mode 1
		.amdhsa_memory_ordered 1
		.amdhsa_forward_progress 0
		.amdhsa_shared_vgpr_count 0
		.amdhsa_exception_fp_ieee_invalid_op 0
		.amdhsa_exception_fp_denorm_src 0
		.amdhsa_exception_fp_ieee_div_zero 0
		.amdhsa_exception_fp_ieee_overflow 0
		.amdhsa_exception_fp_ieee_underflow 0
		.amdhsa_exception_fp_ieee_inexact 0
		.amdhsa_exception_int_div_zero 0
	.end_amdhsa_kernel
	.section	.text._ZN9rocsparseL29bsrmmnn_small_blockdim_kernelILj64ELj8ELj2EiiDF16_DF16_ffEEv20rocsparse_direction_T3_S2_llNS_24const_host_device_scalarIT7_EEPKT2_PKS2_PKT4_PKT5_llS5_PT6_ll16rocsparse_order_21rocsparse_index_base_b,"axG",@progbits,_ZN9rocsparseL29bsrmmnn_small_blockdim_kernelILj64ELj8ELj2EiiDF16_DF16_ffEEv20rocsparse_direction_T3_S2_llNS_24const_host_device_scalarIT7_EEPKT2_PKS2_PKT4_PKT5_llS5_PT6_ll16rocsparse_order_21rocsparse_index_base_b,comdat
.Lfunc_end12:
	.size	_ZN9rocsparseL29bsrmmnn_small_blockdim_kernelILj64ELj8ELj2EiiDF16_DF16_ffEEv20rocsparse_direction_T3_S2_llNS_24const_host_device_scalarIT7_EEPKT2_PKS2_PKT4_PKT5_llS5_PT6_ll16rocsparse_order_21rocsparse_index_base_b, .Lfunc_end12-_ZN9rocsparseL29bsrmmnn_small_blockdim_kernelILj64ELj8ELj2EiiDF16_DF16_ffEEv20rocsparse_direction_T3_S2_llNS_24const_host_device_scalarIT7_EEPKT2_PKS2_PKT4_PKT5_llS5_PT6_ll16rocsparse_order_21rocsparse_index_base_b
                                        ; -- End function
	.section	.AMDGPU.csdata,"",@progbits
; Kernel info:
; codeLenInByte = 1720
; NumSgprs: 30
; NumVgprs: 37
; ScratchSize: 0
; MemoryBound: 0
; FloatMode: 240
; IeeeMode: 1
; LDSByteSize: 640 bytes/workgroup (compile time only)
; SGPRBlocks: 3
; VGPRBlocks: 4
; NumSGPRsForWavesPerEU: 30
; NumVGPRsForWavesPerEU: 37
; Occupancy: 16
; WaveLimiterHint : 0
; COMPUTE_PGM_RSRC2:SCRATCH_EN: 0
; COMPUTE_PGM_RSRC2:USER_SGPR: 14
; COMPUTE_PGM_RSRC2:TRAP_HANDLER: 0
; COMPUTE_PGM_RSRC2:TGID_X_EN: 1
; COMPUTE_PGM_RSRC2:TGID_Y_EN: 1
; COMPUTE_PGM_RSRC2:TGID_Z_EN: 0
; COMPUTE_PGM_RSRC2:TIDIG_COMP_CNT: 0
	.section	.text._ZN9rocsparseL29bsrmmnn_small_blockdim_kernelILj64ELj8ELj2EliDF16_DF16_ffEEv20rocsparse_direction_T3_S2_llNS_24const_host_device_scalarIT7_EEPKT2_PKS2_PKT4_PKT5_llS5_PT6_ll16rocsparse_order_21rocsparse_index_base_b,"axG",@progbits,_ZN9rocsparseL29bsrmmnn_small_blockdim_kernelILj64ELj8ELj2EliDF16_DF16_ffEEv20rocsparse_direction_T3_S2_llNS_24const_host_device_scalarIT7_EEPKT2_PKS2_PKT4_PKT5_llS5_PT6_ll16rocsparse_order_21rocsparse_index_base_b,comdat
	.globl	_ZN9rocsparseL29bsrmmnn_small_blockdim_kernelILj64ELj8ELj2EliDF16_DF16_ffEEv20rocsparse_direction_T3_S2_llNS_24const_host_device_scalarIT7_EEPKT2_PKS2_PKT4_PKT5_llS5_PT6_ll16rocsparse_order_21rocsparse_index_base_b ; -- Begin function _ZN9rocsparseL29bsrmmnn_small_blockdim_kernelILj64ELj8ELj2EliDF16_DF16_ffEEv20rocsparse_direction_T3_S2_llNS_24const_host_device_scalarIT7_EEPKT2_PKS2_PKT4_PKT5_llS5_PT6_ll16rocsparse_order_21rocsparse_index_base_b
	.p2align	8
	.type	_ZN9rocsparseL29bsrmmnn_small_blockdim_kernelILj64ELj8ELj2EliDF16_DF16_ffEEv20rocsparse_direction_T3_S2_llNS_24const_host_device_scalarIT7_EEPKT2_PKS2_PKT4_PKT5_llS5_PT6_ll16rocsparse_order_21rocsparse_index_base_b,@function
_ZN9rocsparseL29bsrmmnn_small_blockdim_kernelILj64ELj8ELj2EliDF16_DF16_ffEEv20rocsparse_direction_T3_S2_llNS_24const_host_device_scalarIT7_EEPKT2_PKS2_PKT4_PKT5_llS5_PT6_ll16rocsparse_order_21rocsparse_index_base_b: ; @_ZN9rocsparseL29bsrmmnn_small_blockdim_kernelILj64ELj8ELj2EliDF16_DF16_ffEEv20rocsparse_direction_T3_S2_llNS_24const_host_device_scalarIT7_EEPKT2_PKS2_PKT4_PKT5_llS5_PT6_ll16rocsparse_order_21rocsparse_index_base_b
; %bb.0:
	s_clause 0x2
	s_load_b128 s[16:19], s[0:1], 0x78
	s_load_b64 s[2:3], s[0:1], 0x20
	s_load_b64 s[12:13], s[0:1], 0x58
	s_waitcnt lgkmcnt(0)
	s_bitcmp1_b32 s18, 0
	s_cselect_b32 s4, -1, 0
	s_delay_alu instid0(SALU_CYCLE_1)
	s_and_b32 vcc_lo, exec_lo, s4
	s_xor_b32 s4, s4, -1
	s_cbranch_vccnz .LBB13_2
; %bb.1:
	s_load_b32 s2, s[2:3], 0x0
.LBB13_2:
	s_and_not1_b32 vcc_lo, exec_lo, s4
	s_cbranch_vccnz .LBB13_4
; %bb.3:
	s_load_b32 s12, s[12:13], 0x0
.LBB13_4:
	s_waitcnt lgkmcnt(0)
	v_cmp_eq_f32_e64 s3, s2, 0
	v_cmp_eq_f32_e64 s4, s12, 1.0
	s_delay_alu instid0(VALU_DEP_1) | instskip(NEXT) | instid1(SALU_CYCLE_1)
	s_and_b32 s3, s3, s4
	s_and_b32 vcc_lo, exec_lo, s3
	s_cbranch_vccnz .LBB13_28
; %bb.5:
	s_clause 0x1
	s_load_b32 s3, s[0:1], 0x88
	s_load_b128 s[20:23], s[0:1], 0x0
	s_add_u32 s4, s0, 0x88
	s_addc_u32 s5, s1, 0
	v_mov_b32_e32 v5, 0
	s_waitcnt lgkmcnt(0)
	s_cmp_lt_u32 s14, s3
	s_cselect_b32 s6, 12, 18
	s_delay_alu instid0(SALU_CYCLE_1)
	s_add_u32 s4, s4, s6
	s_addc_u32 s5, s5, 0
	global_load_u16 v3, v5, s[4:5]
	s_mov_b32 s4, exec_lo
	s_waitcnt vmcnt(0)
	v_mad_u64_u32 v[1:2], null, s14, v3, v[0:1]
	s_delay_alu instid0(VALU_DEP_1) | instskip(NEXT) | instid1(VALU_DEP_1)
	v_lshrrev_b32_e32 v4, 4, v1
	v_cmpx_gt_i32_e64 s21, v4
	s_cbranch_execz .LBB13_28
; %bb.6:
	s_clause 0x2
	s_load_b128 s[24:27], s[0:1], 0x60
	s_load_b64 s[18:19], s[0:1], 0x48
	s_load_b256 s[4:11], s[0:1], 0x28
	v_lshrrev_b32_e32 v13, 3, v1
	v_mul_lo_u32 v6, s3, v3
	v_lshrrev_b32_e32 v12, 3, v0
	v_bfe_u32 v14, v1, 3, 1
	s_cmp_lg_u32 s16, 1
	v_cmp_neq_f32_e64 s3, s12, 0
	s_cselect_b32 s13, -1, 0
	s_cmp_eq_u32 s20, 0
	v_lshl_add_u32 v17, v12, 5, 0x180
	v_lshrrev_b32_e32 v19, 4, v6
	s_cselect_b32 s1, -1, 0
	v_mul_u32_u24_e32 v18, 48, v12
	s_waitcnt lgkmcnt(0)
	v_mad_u64_u32 v[2:3], null, v13, s26, 0
	s_delay_alu instid0(VALU_DEP_1) | instskip(NEXT) | instid1(VALU_DEP_1)
	v_mad_u64_u32 v[10:11], null, v13, s27, v[3:4]
	v_dual_mov_b32 v3, v10 :: v_dual_and_b32 v16, 7, v1
	s_delay_alu instid0(VALU_DEP_1) | instskip(SKIP_2) | instid1(VALU_DEP_4)
	v_lshl_or_b32 v0, s15, 3, v16
	v_mul_u32_u24_e32 v7, 3, v16
	v_lshl_or_b32 v20, v16, 2, v17
	v_lshlrev_b64 v[2:3], 2, v[2:3]
	s_delay_alu instid0(VALU_DEP_4) | instskip(NEXT) | instid1(VALU_DEP_4)
	v_ashrrev_i32_e32 v1, 31, v0
	v_lshlrev_b32_e32 v15, 1, v7
	v_mul_lo_u32 v22, v0, s19
	v_mad_u64_u32 v[6:7], null, v0, s18, 0
	s_delay_alu instid0(VALU_DEP_4)
	v_mul_lo_u32 v21, v1, s18
	v_mul_lo_u32 v23, v1, s26
	;; [unrolled: 1-line block ×3, first 2 shown]
	v_mad_u64_u32 v[8:9], null, v0, s26, 0
	v_cmp_gt_i32_e64 s0, s22, v0
	v_lshlrev_b64 v[0:1], 2, v[0:1]
	v_add3_u32 v7, v7, v22, v21
	v_mad_u32_u24 v21, v12, 48, v15
	v_add3_u32 v9, v9, v24, v23
	s_delay_alu instid0(VALU_DEP_4) | instskip(NEXT) | instid1(VALU_DEP_4)
	v_add_co_u32 v10, vcc_lo, s24, v0
	v_lshlrev_b64 v[6:7], 1, v[6:7]
	v_add_co_ci_u32_e32 v11, vcc_lo, s25, v1, vcc_lo
	s_delay_alu instid0(VALU_DEP_4) | instskip(NEXT) | instid1(VALU_DEP_3)
	v_lshlrev_b64 v[0:1], 2, v[8:9]
	v_add_co_u32 v22, vcc_lo, s10, v6
	s_delay_alu instid0(VALU_DEP_4)
	v_add_co_ci_u32_e32 v23, vcc_lo, s11, v7, vcc_lo
	v_add_co_u32 v6, vcc_lo, v10, v2
	v_add_co_ci_u32_e32 v7, vcc_lo, v11, v3, vcc_lo
	v_cndmask_b32_e64 v3, 0, 1, s1
	v_lshlrev_b32_e32 v2, 2, v13
	v_add_co_u32 v0, vcc_lo, s24, v0
	v_add_co_ci_u32_e32 v1, vcc_lo, s25, v1, vcc_lo
	s_delay_alu instid0(VALU_DEP_4) | instskip(NEXT) | instid1(VALU_DEP_3)
	v_lshlrev_b32_e32 v3, v3, v14
	v_add_co_u32 v8, vcc_lo, v0, v2
	s_and_b32 s1, s1, exec_lo
	s_cselect_b32 s1, 1, 2
	s_delay_alu instid0(VALU_DEP_2) | instskip(SKIP_1) | instid1(VALU_DEP_1)
	v_lshlrev_b32_e32 v0, 1, v3
	v_sub_co_u32 v24, s10, v16, s17
	v_sub_co_ci_u32_e64 v25, null, 0, 0, s10
	s_delay_alu instid0(VALU_DEP_3)
	v_add_co_u32 v26, s10, s8, v0
	v_add_co_u32 v28, s1, s1, v3
	v_add_co_ci_u32_e32 v9, vcc_lo, 0, v1, vcc_lo
	v_add_co_ci_u32_e64 v27, null, s9, 0, s10
	v_add_co_ci_u32_e64 v29, null, 0, 0, s1
	s_mov_b32 s10, 0
	s_mov_b32 s11, s17
	s_branch .LBB13_8
.LBB13_7:                               ;   in Loop: Header=BB13_8 Depth=1
	s_or_b32 exec_lo, exec_lo, s1
	v_add_nc_u32_e32 v4, v4, v19
	s_delay_alu instid0(VALU_DEP_1) | instskip(SKIP_1) | instid1(SALU_CYCLE_1)
	v_cmp_le_i32_e32 vcc_lo, s21, v4
	s_or_b32 s10, vcc_lo, s10
	s_and_not1_b32 exec_lo, exec_lo, s10
	s_cbranch_execz .LBB13_28
.LBB13_8:                               ; =>This Loop Header: Depth=1
                                        ;     Child Loop BB13_11 Depth 2
	v_lshlrev_b64 v[0:1], 3, v[4:5]
	v_mov_b32_e32 v30, 0
	s_mov_b32 s14, exec_lo
	s_delay_alu instid0(VALU_DEP_2) | instskip(NEXT) | instid1(VALU_DEP_3)
	v_add_co_u32 v0, vcc_lo, s4, v0
	v_add_co_ci_u32_e32 v1, vcc_lo, s5, v1, vcc_lo
	global_load_b128 v[0:3], v[0:1], off
	s_waitcnt vmcnt(0)
	v_cmpx_lt_i64_e64 v[0:1], v[2:3]
	s_cbranch_execz .LBB13_16
; %bb.9:                                ;   in Loop: Header=BB13_8 Depth=1
	v_add_co_u32 v10, vcc_lo, v24, v0
	v_add_co_ci_u32_e32 v11, vcc_lo, v25, v1, vcc_lo
	v_sub_co_u32 v2, vcc_lo, v2, s11
	v_subrev_co_ci_u32_e32 v3, vcc_lo, 0, v3, vcc_lo
	s_delay_alu instid0(VALU_DEP_3) | instskip(SKIP_3) | instid1(VALU_DEP_4)
	v_lshlrev_b64 v[12:13], 2, v[10:11]
	v_sub_co_u32 v0, vcc_lo, v0, s11
	v_subrev_co_ci_u32_e32 v1, vcc_lo, 0, v1, vcc_lo
	v_lshlrev_b64 v[14:15], 3, v[10:11]
	v_add_co_u32 v30, vcc_lo, v28, v12
	v_add_co_ci_u32_e32 v31, vcc_lo, v29, v13, vcc_lo
	v_add_co_u32 v10, vcc_lo, s6, v12
	v_add_co_ci_u32_e32 v11, vcc_lo, s7, v13, vcc_lo
	s_delay_alu instid0(VALU_DEP_3) | instskip(SKIP_3) | instid1(VALU_DEP_3)
	v_lshlrev_b64 v[30:31], 1, v[30:31]
	v_add_co_u32 v12, vcc_lo, v26, v14
	v_add_co_ci_u32_e32 v13, vcc_lo, v27, v15, vcc_lo
	s_mov_b32 s15, 0
	v_add_co_u32 v14, vcc_lo, s8, v30
	s_delay_alu instid0(VALU_DEP_4)
	v_add_co_ci_u32_e32 v15, vcc_lo, s9, v31, vcc_lo
	v_mov_b32_e32 v30, 0
	s_branch .LBB13_11
.LBB13_10:                              ;   in Loop: Header=BB13_11 Depth=2
	s_or_b32 exec_lo, exec_lo, s1
	v_add_co_u32 v0, vcc_lo, v0, 8
	v_add_co_ci_u32_e32 v1, vcc_lo, 0, v1, vcc_lo
	v_add_co_u32 v10, vcc_lo, v10, 32
	v_add_co_ci_u32_e32 v11, vcc_lo, 0, v11, vcc_lo
	;; [unrolled: 2-line block ×3, first 2 shown]
	v_cmp_ge_i64_e32 vcc_lo, v[0:1], v[2:3]
	v_add_co_u32 v14, s1, v14, 64
	s_delay_alu instid0(VALU_DEP_1) | instskip(SKIP_1) | instid1(SALU_CYCLE_1)
	v_add_co_ci_u32_e64 v15, s1, 0, v15, s1
	s_or_b32 s15, vcc_lo, s15
	s_and_not1_b32 exec_lo, exec_lo, s15
	s_cbranch_execz .LBB13_15
.LBB13_11:                              ;   Parent Loop BB13_8 Depth=1
                                        ; =>  This Inner Loop Header: Depth=2
	v_add_co_u32 v31, vcc_lo, v16, v0
	v_add_co_ci_u32_e32 v32, vcc_lo, 0, v1, vcc_lo
	s_delay_alu instid0(VALU_DEP_1)
	v_cmp_lt_i64_e32 vcc_lo, v[31:32], v[2:3]
	v_dual_mov_b32 v32, 0 :: v_dual_mov_b32 v31, 0
	s_and_saveexec_b32 s1, vcc_lo
	s_cbranch_execz .LBB13_13
; %bb.12:                               ;   in Loop: Header=BB13_11 Depth=2
	global_load_u16 v31, v[12:13], off
	global_load_b32 v32, v[10:11], off
	global_load_d16_hi_b16 v31, v[14:15], off
	s_waitcnt vmcnt(1)
	v_subrev_nc_u32_e32 v32, s17, v32
	s_delay_alu instid0(VALU_DEP_1)
	v_lshlrev_b32_e32 v32, 1, v32
.LBB13_13:                              ;   in Loop: Header=BB13_11 Depth=2
	s_or_b32 exec_lo, exec_lo, s1
	ds_store_b32 v20, v32
	s_waitcnt vmcnt(0)
	ds_store_b32 v21, v31
	s_waitcnt lgkmcnt(0)
	s_waitcnt_vscnt null, 0x0
	s_barrier
	buffer_gl0_inv
	s_and_saveexec_b32 s1, s0
	s_cbranch_execz .LBB13_10
; %bb.14:                               ;   in Loop: Header=BB13_11 Depth=2
	ds_load_b128 v[31:34], v17
	ds_load_b128 v[35:38], v17 offset:16
	s_waitcnt lgkmcnt(1)
	v_ashrrev_i32_e32 v40, 31, v31
	v_mov_b32_e32 v39, v31
	v_ashrrev_i32_e32 v42, 31, v32
	v_mov_b32_e32 v31, v33
	;; [unrolled: 2-line block ×3, first 2 shown]
	v_lshlrev_b64 v[39:40], 1, v[39:40]
	s_waitcnt lgkmcnt(0)
	v_ashrrev_i32_e32 v34, 31, v35
	s_delay_alu instid0(VALU_DEP_2) | instskip(NEXT) | instid1(VALU_DEP_3)
	v_add_co_u32 v39, vcc_lo, v22, v39
	v_add_co_ci_u32_e32 v40, vcc_lo, v23, v40, vcc_lo
	global_load_b32 v45, v[39:40], off
	v_mov_b32_e32 v41, v32
	v_ashrrev_i32_e32 v32, 31, v33
	v_mov_b32_e32 v33, v35
	s_delay_alu instid0(VALU_DEP_3) | instskip(NEXT) | instid1(VALU_DEP_3)
	v_lshlrev_b64 v[41:42], 1, v[41:42]
	v_lshlrev_b64 v[31:32], 1, v[31:32]
	s_delay_alu instid0(VALU_DEP_3) | instskip(NEXT) | instid1(VALU_DEP_3)
	v_lshlrev_b64 v[33:34], 1, v[33:34]
	v_add_co_u32 v39, vcc_lo, v22, v41
	s_delay_alu instid0(VALU_DEP_4)
	v_add_co_ci_u32_e32 v40, vcc_lo, v23, v42, vcc_lo
	v_ashrrev_i32_e32 v42, 31, v36
	v_mov_b32_e32 v41, v36
	v_lshlrev_b64 v[35:36], 1, v[43:44]
	global_load_b32 v46, v[39:40], off
	v_add_co_u32 v31, vcc_lo, v22, v31
	v_add_co_ci_u32_e32 v32, vcc_lo, v23, v32, vcc_lo
	v_add_co_u32 v35, vcc_lo, v22, v35
	v_add_co_ci_u32_e32 v36, vcc_lo, v23, v36, vcc_lo
	global_load_b32 v43, v[31:32], off
	v_add_co_u32 v33, vcc_lo, v22, v33
	global_load_b32 v44, v[35:36], off
	v_lshlrev_b64 v[35:36], 1, v[41:42]
	v_add_co_ci_u32_e32 v34, vcc_lo, v23, v34, vcc_lo
	s_delay_alu instid0(VALU_DEP_2)
	v_add_co_u32 v39, vcc_lo, v22, v35
	global_load_b32 v35, v[33:34], off
	v_ashrrev_i32_e32 v32, 31, v37
	v_mov_b32_e32 v31, v37
	v_ashrrev_i32_e32 v37, 31, v38
	v_add_co_ci_u32_e32 v40, vcc_lo, v23, v36, vcc_lo
	v_mov_b32_e32 v36, v38
	s_delay_alu instid0(VALU_DEP_4) | instskip(SKIP_4) | instid1(VALU_DEP_3)
	v_lshlrev_b64 v[31:32], 1, v[31:32]
	global_load_b32 v38, v[39:40], off
	v_lshlrev_b64 v[33:34], 1, v[36:37]
	v_add_co_u32 v31, vcc_lo, v22, v31
	v_add_co_ci_u32_e32 v32, vcc_lo, v23, v32, vcc_lo
	v_add_co_u32 v33, vcc_lo, v22, v33
	s_delay_alu instid0(VALU_DEP_4)
	v_add_co_ci_u32_e32 v34, vcc_lo, v23, v34, vcc_lo
	s_clause 0x1
	global_load_b32 v36, v[31:32], off
	global_load_b32 v33, v[33:34], off
	ds_load_2addr_b32 v[31:32], v18 offset1:3
	ds_load_u16 v34, v18 offset:6
	ds_load_u16 v37, v18 offset:8
	s_waitcnt vmcnt(7) lgkmcnt(2)
	v_dot2acc_f32_f16 v30, v31, v45
	ds_load_u16 v39, v18 offset:18
	ds_load_u16 v40, v18 offset:20
	;; [unrolled: 1-line block ×6, first 2 shown]
	s_waitcnt vmcnt(6) lgkmcnt(7)
	v_fma_mix_f32 v34, v34, v46, v30 op_sel_hi:[1,1,0]
	ds_load_2addr_b32 v[30:31], v18 offset0:6 offset1:9
	s_waitcnt lgkmcnt(7)
	v_fma_mix_f32 v34, v37, v46, v34 op_sel:[0,1,0] op_sel_hi:[1,1,0]
	s_waitcnt vmcnt(5)
	s_delay_alu instid0(VALU_DEP_1) | instskip(SKIP_1) | instid1(VALU_DEP_1)
	v_dot2acc_f32_f16 v34, v32, v43
	s_waitcnt vmcnt(4) lgkmcnt(6)
	v_fma_mix_f32 v32, v39, v44, v34 op_sel_hi:[1,1,0]
	s_waitcnt lgkmcnt(5)
	s_delay_alu instid0(VALU_DEP_1) | instskip(SKIP_1) | instid1(VALU_DEP_1)
	v_fma_mix_f32 v32, v40, v44, v32 op_sel:[0,1,0] op_sel_hi:[1,1,0]
	s_waitcnt vmcnt(3) lgkmcnt(0)
	v_dot2acc_f32_f16 v32, v30, v35
	s_waitcnt vmcnt(2)
	s_delay_alu instid0(VALU_DEP_1) | instskip(NEXT) | instid1(VALU_DEP_1)
	v_fma_mix_f32 v30, v41, v38, v32 op_sel_hi:[1,1,0]
	v_fma_mix_f32 v30, v42, v38, v30 op_sel:[0,1,0] op_sel_hi:[1,1,0]
	s_waitcnt vmcnt(1)
	s_delay_alu instid0(VALU_DEP_1) | instskip(SKIP_1) | instid1(VALU_DEP_1)
	v_dot2acc_f32_f16 v30, v31, v36
	s_waitcnt vmcnt(0)
	v_fma_mix_f32 v30, v45, v33, v30 op_sel_hi:[1,1,0]
	s_delay_alu instid0(VALU_DEP_1)
	v_fma_mix_f32 v30, v47, v33, v30 op_sel:[0,1,0] op_sel_hi:[1,1,0]
	s_branch .LBB13_10
.LBB13_15:                              ;   in Loop: Header=BB13_8 Depth=1
	s_or_b32 exec_lo, exec_lo, s15
.LBB13_16:                              ;   in Loop: Header=BB13_8 Depth=1
	s_delay_alu instid0(SALU_CYCLE_1)
	s_or_b32 exec_lo, exec_lo, s14
	s_and_saveexec_b32 s1, s0
	s_cbranch_execz .LBB13_7
; %bb.17:                               ;   in Loop: Header=BB13_8 Depth=1
	v_mul_f32_e32 v0, s2, v30
	s_and_b32 vcc_lo, exec_lo, s3
	s_cbranch_vccz .LBB13_23
; %bb.18:                               ;   in Loop: Header=BB13_8 Depth=1
	s_and_b32 vcc_lo, exec_lo, s13
	s_mov_b32 s14, -1
	s_cbranch_vccz .LBB13_20
; %bb.19:                               ;   in Loop: Header=BB13_8 Depth=1
	global_load_b32 v1, v[6:7], off
	s_mov_b32 s14, 0
	s_waitcnt vmcnt(0)
	v_fma_f32 v1, s12, v1, v0
	global_store_b32 v[6:7], v1, off
.LBB13_20:                              ;   in Loop: Header=BB13_8 Depth=1
	s_and_not1_b32 vcc_lo, exec_lo, s14
	s_cbranch_vccnz .LBB13_22
; %bb.21:                               ;   in Loop: Header=BB13_8 Depth=1
	global_load_b32 v1, v[8:9], off
	s_waitcnt vmcnt(0)
	v_fma_f32 v1, s12, v1, v0
	global_store_b32 v[8:9], v1, off
.LBB13_22:                              ;   in Loop: Header=BB13_8 Depth=1
	s_cbranch_execnz .LBB13_7
	s_branch .LBB13_24
.LBB13_23:                              ;   in Loop: Header=BB13_8 Depth=1
.LBB13_24:                              ;   in Loop: Header=BB13_8 Depth=1
	s_and_b32 vcc_lo, exec_lo, s13
	s_mov_b32 s14, -1
	s_cbranch_vccz .LBB13_26
; %bb.25:                               ;   in Loop: Header=BB13_8 Depth=1
	s_mov_b32 s14, 0
	global_store_b32 v[6:7], v0, off
.LBB13_26:                              ;   in Loop: Header=BB13_8 Depth=1
	s_and_not1_b32 vcc_lo, exec_lo, s14
	s_cbranch_vccnz .LBB13_7
; %bb.27:                               ;   in Loop: Header=BB13_8 Depth=1
	global_store_b32 v[8:9], v0, off
	s_branch .LBB13_7
.LBB13_28:
	s_nop 0
	s_sendmsg sendmsg(MSG_DEALLOC_VGPRS)
	s_endpgm
	.section	.rodata,"a",@progbits
	.p2align	6, 0x0
	.amdhsa_kernel _ZN9rocsparseL29bsrmmnn_small_blockdim_kernelILj64ELj8ELj2EliDF16_DF16_ffEEv20rocsparse_direction_T3_S2_llNS_24const_host_device_scalarIT7_EEPKT2_PKS2_PKT4_PKT5_llS5_PT6_ll16rocsparse_order_21rocsparse_index_base_b
		.amdhsa_group_segment_fixed_size 640
		.amdhsa_private_segment_fixed_size 0
		.amdhsa_kernarg_size 392
		.amdhsa_user_sgpr_count 14
		.amdhsa_user_sgpr_dispatch_ptr 0
		.amdhsa_user_sgpr_queue_ptr 0
		.amdhsa_user_sgpr_kernarg_segment_ptr 1
		.amdhsa_user_sgpr_dispatch_id 0
		.amdhsa_user_sgpr_private_segment_size 0
		.amdhsa_wavefront_size32 1
		.amdhsa_uses_dynamic_stack 0
		.amdhsa_enable_private_segment 0
		.amdhsa_system_sgpr_workgroup_id_x 1
		.amdhsa_system_sgpr_workgroup_id_y 1
		.amdhsa_system_sgpr_workgroup_id_z 0
		.amdhsa_system_sgpr_workgroup_info 0
		.amdhsa_system_vgpr_workitem_id 0
		.amdhsa_next_free_vgpr 48
		.amdhsa_next_free_sgpr 28
		.amdhsa_reserve_vcc 1
		.amdhsa_float_round_mode_32 0
		.amdhsa_float_round_mode_16_64 0
		.amdhsa_float_denorm_mode_32 3
		.amdhsa_float_denorm_mode_16_64 3
		.amdhsa_dx10_clamp 1
		.amdhsa_ieee_mode 1
		.amdhsa_fp16_overflow 0
		.amdhsa_workgroup_processor_mode 1
		.amdhsa_memory_ordered 1
		.amdhsa_forward_progress 0
		.amdhsa_shared_vgpr_count 0
		.amdhsa_exception_fp_ieee_invalid_op 0
		.amdhsa_exception_fp_denorm_src 0
		.amdhsa_exception_fp_ieee_div_zero 0
		.amdhsa_exception_fp_ieee_overflow 0
		.amdhsa_exception_fp_ieee_underflow 0
		.amdhsa_exception_fp_ieee_inexact 0
		.amdhsa_exception_int_div_zero 0
	.end_amdhsa_kernel
	.section	.text._ZN9rocsparseL29bsrmmnn_small_blockdim_kernelILj64ELj8ELj2EliDF16_DF16_ffEEv20rocsparse_direction_T3_S2_llNS_24const_host_device_scalarIT7_EEPKT2_PKS2_PKT4_PKT5_llS5_PT6_ll16rocsparse_order_21rocsparse_index_base_b,"axG",@progbits,_ZN9rocsparseL29bsrmmnn_small_blockdim_kernelILj64ELj8ELj2EliDF16_DF16_ffEEv20rocsparse_direction_T3_S2_llNS_24const_host_device_scalarIT7_EEPKT2_PKS2_PKT4_PKT5_llS5_PT6_ll16rocsparse_order_21rocsparse_index_base_b,comdat
.Lfunc_end13:
	.size	_ZN9rocsparseL29bsrmmnn_small_blockdim_kernelILj64ELj8ELj2EliDF16_DF16_ffEEv20rocsparse_direction_T3_S2_llNS_24const_host_device_scalarIT7_EEPKT2_PKS2_PKT4_PKT5_llS5_PT6_ll16rocsparse_order_21rocsparse_index_base_b, .Lfunc_end13-_ZN9rocsparseL29bsrmmnn_small_blockdim_kernelILj64ELj8ELj2EliDF16_DF16_ffEEv20rocsparse_direction_T3_S2_llNS_24const_host_device_scalarIT7_EEPKT2_PKS2_PKT4_PKT5_llS5_PT6_ll16rocsparse_order_21rocsparse_index_base_b
                                        ; -- End function
	.section	.AMDGPU.csdata,"",@progbits
; Kernel info:
; codeLenInByte = 1836
; NumSgprs: 30
; NumVgprs: 48
; ScratchSize: 0
; MemoryBound: 0
; FloatMode: 240
; IeeeMode: 1
; LDSByteSize: 640 bytes/workgroup (compile time only)
; SGPRBlocks: 3
; VGPRBlocks: 5
; NumSGPRsForWavesPerEU: 30
; NumVGPRsForWavesPerEU: 48
; Occupancy: 16
; WaveLimiterHint : 0
; COMPUTE_PGM_RSRC2:SCRATCH_EN: 0
; COMPUTE_PGM_RSRC2:USER_SGPR: 14
; COMPUTE_PGM_RSRC2:TRAP_HANDLER: 0
; COMPUTE_PGM_RSRC2:TGID_X_EN: 1
; COMPUTE_PGM_RSRC2:TGID_Y_EN: 1
; COMPUTE_PGM_RSRC2:TGID_Z_EN: 0
; COMPUTE_PGM_RSRC2:TIDIG_COMP_CNT: 0
	.section	.text._ZN9rocsparseL29bsrmmnn_small_blockdim_kernelILj64ELj8ELj2EllDF16_DF16_ffEEv20rocsparse_direction_T3_S2_llNS_24const_host_device_scalarIT7_EEPKT2_PKS2_PKT4_PKT5_llS5_PT6_ll16rocsparse_order_21rocsparse_index_base_b,"axG",@progbits,_ZN9rocsparseL29bsrmmnn_small_blockdim_kernelILj64ELj8ELj2EllDF16_DF16_ffEEv20rocsparse_direction_T3_S2_llNS_24const_host_device_scalarIT7_EEPKT2_PKS2_PKT4_PKT5_llS5_PT6_ll16rocsparse_order_21rocsparse_index_base_b,comdat
	.globl	_ZN9rocsparseL29bsrmmnn_small_blockdim_kernelILj64ELj8ELj2EllDF16_DF16_ffEEv20rocsparse_direction_T3_S2_llNS_24const_host_device_scalarIT7_EEPKT2_PKS2_PKT4_PKT5_llS5_PT6_ll16rocsparse_order_21rocsparse_index_base_b ; -- Begin function _ZN9rocsparseL29bsrmmnn_small_blockdim_kernelILj64ELj8ELj2EllDF16_DF16_ffEEv20rocsparse_direction_T3_S2_llNS_24const_host_device_scalarIT7_EEPKT2_PKS2_PKT4_PKT5_llS5_PT6_ll16rocsparse_order_21rocsparse_index_base_b
	.p2align	8
	.type	_ZN9rocsparseL29bsrmmnn_small_blockdim_kernelILj64ELj8ELj2EllDF16_DF16_ffEEv20rocsparse_direction_T3_S2_llNS_24const_host_device_scalarIT7_EEPKT2_PKS2_PKT4_PKT5_llS5_PT6_ll16rocsparse_order_21rocsparse_index_base_b,@function
_ZN9rocsparseL29bsrmmnn_small_blockdim_kernelILj64ELj8ELj2EllDF16_DF16_ffEEv20rocsparse_direction_T3_S2_llNS_24const_host_device_scalarIT7_EEPKT2_PKS2_PKT4_PKT5_llS5_PT6_ll16rocsparse_order_21rocsparse_index_base_b: ; @_ZN9rocsparseL29bsrmmnn_small_blockdim_kernelILj64ELj8ELj2EllDF16_DF16_ffEEv20rocsparse_direction_T3_S2_llNS_24const_host_device_scalarIT7_EEPKT2_PKS2_PKT4_PKT5_llS5_PT6_ll16rocsparse_order_21rocsparse_index_base_b
; %bb.0:
	s_clause 0x2
	s_load_b128 s[20:23], s[0:1], 0x80
	s_load_b64 s[2:3], s[0:1], 0x28
	s_load_b64 s[12:13], s[0:1], 0x60
	s_waitcnt lgkmcnt(0)
	s_bitcmp1_b32 s22, 0
	s_cselect_b32 s4, -1, 0
	s_delay_alu instid0(SALU_CYCLE_1)
	s_and_b32 vcc_lo, exec_lo, s4
	s_xor_b32 s4, s4, -1
	s_cbranch_vccnz .LBB14_2
; %bb.1:
	s_load_b32 s2, s[2:3], 0x0
.LBB14_2:
	s_and_not1_b32 vcc_lo, exec_lo, s4
	s_cbranch_vccnz .LBB14_4
; %bb.3:
	s_load_b32 s12, s[12:13], 0x0
.LBB14_4:
	s_waitcnt lgkmcnt(0)
	v_cmp_eq_f32_e64 s3, s2, 0
	v_cmp_eq_f32_e64 s4, s12, 1.0
	s_delay_alu instid0(VALU_DEP_1) | instskip(NEXT) | instid1(SALU_CYCLE_1)
	s_and_b32 s3, s3, s4
	s_and_b32 vcc_lo, exec_lo, s3
	s_cbranch_vccnz .LBB14_28
; %bb.5:
	s_clause 0x1
	s_load_b32 s13, s[0:1], 0x90
	s_load_b128 s[16:19], s[0:1], 0x8
	s_add_u32 s3, s0, 0x90
	s_addc_u32 s5, s1, 0
	v_mov_b32_e32 v5, 0
	s_waitcnt lgkmcnt(0)
	s_cmp_lt_u32 s14, s13
	s_cselect_b32 s4, 12, 18
	s_delay_alu instid0(SALU_CYCLE_1)
	s_add_u32 s4, s3, s4
	s_addc_u32 s5, s5, 0
	s_mov_b32 s3, 0
	global_load_u16 v3, v5, s[4:5]
	s_mov_b32 s4, exec_lo
	s_waitcnt vmcnt(0)
	v_mad_u64_u32 v[1:2], null, s14, v3, v[0:1]
	s_delay_alu instid0(VALU_DEP_1) | instskip(NEXT) | instid1(VALU_DEP_1)
	v_lshrrev_b32_e32 v4, 4, v1
	v_cmpx_gt_i64_e64 s[16:17], v[4:5]
	s_cbranch_execz .LBB14_28
; %bb.6:
	s_clause 0x2
	s_load_b128 s[24:27], s[0:1], 0x68
	s_load_b256 s[4:11], s[0:1], 0x30
	s_load_b64 s[22:23], s[0:1], 0x50
	v_lshrrev_b32_e32 v16, 3, v1
	v_dual_mov_b32 v11, v5 :: v_dual_and_b32 v18, 7, v1
	v_bfe_u32 v10, v1, 3, 1
	v_lshrrev_b32_e32 v0, 3, v0
	v_mov_b32_e32 v2, v5
	s_delay_alu instid0(VALU_DEP_4)
	v_lshl_or_b32 v1, s15, 3, v18
	v_mul_lo_u32 v3, s13, v3
	s_load_b32 s1, s[0:1], 0x0
	v_lshlrev_b32_e32 v19, 6, v0
	v_mul_u32_u24_e32 v21, 48, v0
	v_cmp_gt_i64_e64 s0, s[18:19], v[1:2]
	s_cmp_lg_u32 s20, 1
	v_mul_u32_u24_e32 v17, 3, v18
	s_cselect_b32 s14, -1, 0
	v_lshrrev_b32_e32 v20, 4, v3
	v_or_b32_e32 v21, 0x200, v21
	s_waitcnt lgkmcnt(0)
	v_mad_u64_u32 v[6:7], null, v16, s26, 0
	v_mad_u64_u32 v[12:13], null, v1, s26, 0
	;; [unrolled: 1-line block ×3, first 2 shown]
	v_cmp_neq_f32_e64 s13, s12, 0
	v_lshl_or_b32 v22, v18, 3, v19
	v_mov_b32_e32 v0, v7
	v_lshl_add_u32 v23, v17, 1, v21
	s_cmp_eq_u32 s1, 0
	s_delay_alu instid0(VALU_DEP_2) | instskip(SKIP_2) | instid1(VALU_DEP_3)
	v_mad_u64_u32 v[14:15], null, v16, s27, v[0:1]
	v_lshlrev_b32_e32 v26, 2, v16
	v_lshlrev_b64 v[15:16], 2, v[1:2]
	v_dual_mov_b32 v2, v13 :: v_dual_mov_b32 v7, v14
	s_delay_alu instid0(VALU_DEP_1) | instskip(SKIP_1) | instid1(VALU_DEP_4)
	v_mad_u64_u32 v[24:25], null, v1, s27, v[2:3]
	v_mov_b32_e32 v0, v9
	v_add_co_u32 v2, vcc_lo, s24, v15
	v_add_co_ci_u32_e32 v3, vcc_lo, s25, v16, vcc_lo
	s_delay_alu instid0(VALU_DEP_3) | instskip(SKIP_1) | instid1(VALU_DEP_2)
	v_mad_u64_u32 v[13:14], null, v1, s23, v[0:1]
	v_lshlrev_b64 v[0:1], 2, v[6:7]
	v_mov_b32_e32 v9, v13
	v_mov_b32_e32 v13, v24
	s_delay_alu instid0(VALU_DEP_3) | instskip(NEXT) | instid1(VALU_DEP_4)
	v_add_co_u32 v6, vcc_lo, v2, v0
	v_add_co_ci_u32_e32 v7, vcc_lo, v3, v1, vcc_lo
	s_delay_alu instid0(VALU_DEP_3) | instskip(SKIP_1) | instid1(VALU_DEP_1)
	v_lshlrev_b64 v[0:1], 2, v[12:13]
	v_add_co_u32 v12, s1, s24, v26
	v_add_co_ci_u32_e64 v13, null, s25, 0, s1
	s_cselect_b32 s1, -1, 0
	v_lshlrev_b64 v[2:3], 1, v[8:9]
	v_cndmask_b32_e64 v14, 0, 1, s1
	v_add_co_u32 v8, vcc_lo, v12, v0
	v_add_co_ci_u32_e32 v9, vcc_lo, v13, v1, vcc_lo
	s_delay_alu instid0(VALU_DEP_3) | instskip(SKIP_3) | instid1(VALU_DEP_3)
	v_lshlrev_b64 v[0:1], v14, v[10:11]
	v_add_co_u32 v24, vcc_lo, s10, v2
	v_add_co_ci_u32_e32 v25, vcc_lo, s11, v3, vcc_lo
	s_and_b32 s1, s1, exec_lo
	v_lshlrev_b64 v[2:3], 1, v[0:1]
	s_cselect_b32 s1, 1, 2
	v_sub_co_u32 v26, s10, v18, s21
	s_delay_alu instid0(VALU_DEP_1) | instskip(NEXT) | instid1(VALU_DEP_3)
	v_sub_co_ci_u32_e64 v27, null, 0, 0, s10
	v_add_co_u32 v28, vcc_lo, s8, v2
	s_delay_alu instid0(VALU_DEP_4)
	v_add_co_ci_u32_e32 v29, vcc_lo, s9, v3, vcc_lo
	v_add_co_u32 v30, vcc_lo, s1, v0
	v_add_co_ci_u32_e32 v31, vcc_lo, 0, v1, vcc_lo
	s_mov_b32 s10, s21
	s_branch .LBB14_8
.LBB14_7:                               ;   in Loop: Header=BB14_8 Depth=1
	s_or_b32 exec_lo, exec_lo, s1
	v_add_co_u32 v4, vcc_lo, v4, v20
	v_add_co_ci_u32_e32 v5, vcc_lo, 0, v5, vcc_lo
	s_delay_alu instid0(VALU_DEP_1) | instskip(SKIP_1) | instid1(SALU_CYCLE_1)
	v_cmp_le_i64_e32 vcc_lo, s[16:17], v[4:5]
	s_or_b32 s3, vcc_lo, s3
	s_and_not1_b32 exec_lo, exec_lo, s3
	s_cbranch_execz .LBB14_28
.LBB14_8:                               ; =>This Loop Header: Depth=1
                                        ;     Child Loop BB14_11 Depth 2
	v_lshlrev_b64 v[0:1], 3, v[4:5]
	v_mov_b32_e32 v32, 0
	s_mov_b32 s11, exec_lo
	s_delay_alu instid0(VALU_DEP_2) | instskip(NEXT) | instid1(VALU_DEP_3)
	v_add_co_u32 v0, vcc_lo, s4, v0
	v_add_co_ci_u32_e32 v1, vcc_lo, s5, v1, vcc_lo
	global_load_b128 v[0:3], v[0:1], off
	s_waitcnt vmcnt(0)
	v_cmpx_lt_i64_e64 v[0:1], v[2:3]
	s_cbranch_execz .LBB14_16
; %bb.9:                                ;   in Loop: Header=BB14_8 Depth=1
	v_add_co_u32 v10, vcc_lo, v26, v0
	v_add_co_ci_u32_e32 v11, vcc_lo, v27, v1, vcc_lo
	v_sub_co_u32 v2, vcc_lo, v2, s10
	v_subrev_co_ci_u32_e32 v3, vcc_lo, 0, v3, vcc_lo
	s_delay_alu instid0(VALU_DEP_3) | instskip(SKIP_3) | instid1(VALU_DEP_4)
	v_lshlrev_b64 v[12:13], 2, v[10:11]
	v_sub_co_u32 v0, vcc_lo, v0, s10
	v_subrev_co_ci_u32_e32 v1, vcc_lo, 0, v1, vcc_lo
	v_lshlrev_b64 v[14:15], 3, v[10:11]
	v_add_co_u32 v12, vcc_lo, v30, v12
	v_add_co_ci_u32_e32 v13, vcc_lo, v31, v13, vcc_lo
	v_mov_b32_e32 v32, 0
	s_delay_alu instid0(VALU_DEP_4) | instskip(NEXT) | instid1(VALU_DEP_3)
	v_add_co_u32 v10, vcc_lo, s6, v14
	v_lshlrev_b64 v[16:17], 1, v[12:13]
	v_add_co_ci_u32_e32 v11, vcc_lo, s7, v15, vcc_lo
	v_add_co_u32 v12, vcc_lo, v28, v14
	v_add_co_ci_u32_e32 v13, vcc_lo, v29, v15, vcc_lo
	s_delay_alu instid0(VALU_DEP_4)
	v_add_co_u32 v14, vcc_lo, s8, v16
	v_add_co_ci_u32_e32 v15, vcc_lo, s9, v17, vcc_lo
	s_mov_b32 s15, 0
	s_branch .LBB14_11
.LBB14_10:                              ;   in Loop: Header=BB14_11 Depth=2
	s_or_b32 exec_lo, exec_lo, s1
	v_add_co_u32 v0, vcc_lo, v0, 8
	v_add_co_ci_u32_e32 v1, vcc_lo, 0, v1, vcc_lo
	v_add_co_u32 v10, vcc_lo, v10, 64
	v_add_co_ci_u32_e32 v11, vcc_lo, 0, v11, vcc_lo
	;; [unrolled: 2-line block ×3, first 2 shown]
	v_cmp_ge_i64_e32 vcc_lo, v[0:1], v[2:3]
	v_add_co_u32 v14, s1, v14, 64
	s_delay_alu instid0(VALU_DEP_1) | instskip(SKIP_1) | instid1(SALU_CYCLE_1)
	v_add_co_ci_u32_e64 v15, s1, 0, v15, s1
	s_or_b32 s15, vcc_lo, s15
	s_and_not1_b32 exec_lo, exec_lo, s15
	s_cbranch_execz .LBB14_15
.LBB14_11:                              ;   Parent Loop BB14_8 Depth=1
                                        ; =>  This Inner Loop Header: Depth=2
	v_add_co_u32 v16, vcc_lo, v18, v0
	v_add_co_ci_u32_e32 v17, vcc_lo, 0, v1, vcc_lo
	v_mov_b32_e32 v33, 0
	s_delay_alu instid0(VALU_DEP_2)
	v_cmp_lt_i64_e32 vcc_lo, v[16:17], v[2:3]
	v_mov_b32_e32 v16, 0
	v_mov_b32_e32 v17, 0
	s_and_saveexec_b32 s1, vcc_lo
	s_cbranch_execz .LBB14_13
; %bb.12:                               ;   in Loop: Header=BB14_11 Depth=2
	global_load_u16 v33, v[12:13], off
	global_load_b64 v[16:17], v[10:11], off
	global_load_d16_hi_b16 v33, v[14:15], off
	s_waitcnt vmcnt(1)
	v_sub_co_u32 v16, vcc_lo, v16, s10
	v_subrev_co_ci_u32_e32 v17, vcc_lo, 0, v17, vcc_lo
	s_delay_alu instid0(VALU_DEP_1)
	v_lshlrev_b64 v[16:17], 1, v[16:17]
.LBB14_13:                              ;   in Loop: Header=BB14_11 Depth=2
	s_or_b32 exec_lo, exec_lo, s1
	ds_store_b64 v22, v[16:17]
	s_waitcnt vmcnt(0)
	ds_store_b32 v23, v33
	s_waitcnt lgkmcnt(0)
	s_waitcnt_vscnt null, 0x0
	s_barrier
	buffer_gl0_inv
	s_and_saveexec_b32 s1, s0
	s_cbranch_execz .LBB14_10
; %bb.14:                               ;   in Loop: Header=BB14_11 Depth=2
	ds_load_b128 v[33:36], v19
	ds_load_b128 v[37:40], v19 offset:16
	s_waitcnt lgkmcnt(1)
	v_lshlrev_b64 v[16:17], 1, v[33:34]
	v_lshlrev_b64 v[41:42], 1, v[35:36]
	s_waitcnt lgkmcnt(0)
	v_lshlrev_b64 v[37:38], 1, v[37:38]
	ds_load_b128 v[33:36], v19 offset:32
	v_add_co_u32 v16, vcc_lo, v24, v16
	v_add_co_ci_u32_e32 v17, vcc_lo, v25, v17, vcc_lo
	global_load_b32 v45, v[16:17], off
	v_add_co_u32 v16, vcc_lo, v24, v41
	v_add_co_ci_u32_e32 v17, vcc_lo, v25, v42, vcc_lo
	ds_load_b128 v[41:44], v19 offset:48
	v_add_co_u32 v37, vcc_lo, v24, v37
	v_add_co_ci_u32_e32 v38, vcc_lo, v25, v38, vcc_lo
	global_load_b32 v46, v[16:17], off
	s_waitcnt lgkmcnt(1)
	v_lshlrev_b64 v[33:34], 1, v[33:34]
	global_load_b32 v37, v[37:38], off
	v_lshlrev_b64 v[16:17], 1, v[39:40]
	s_delay_alu instid0(VALU_DEP_1) | instskip(NEXT) | instid1(VALU_DEP_2)
	v_add_co_u32 v16, vcc_lo, v24, v16
	v_add_co_ci_u32_e32 v17, vcc_lo, v25, v17, vcc_lo
	v_add_co_u32 v33, vcc_lo, v24, v33
	v_add_co_ci_u32_e32 v34, vcc_lo, v25, v34, vcc_lo
	global_load_b32 v38, v[16:17], off
	v_lshlrev_b64 v[16:17], 1, v[35:36]
	global_load_b32 v35, v[33:34], off
	v_add_co_u32 v16, vcc_lo, v24, v16
	v_add_co_ci_u32_e32 v17, vcc_lo, v25, v17, vcc_lo
	global_load_b32 v36, v[16:17], off
	s_waitcnt lgkmcnt(0)
	v_lshlrev_b64 v[33:34], 1, v[41:42]
	v_lshlrev_b64 v[16:17], 1, v[43:44]
	s_delay_alu instid0(VALU_DEP_2) | instskip(NEXT) | instid1(VALU_DEP_3)
	v_add_co_u32 v33, vcc_lo, v24, v33
	v_add_co_ci_u32_e32 v34, vcc_lo, v25, v34, vcc_lo
	s_delay_alu instid0(VALU_DEP_3) | instskip(NEXT) | instid1(VALU_DEP_4)
	v_add_co_u32 v16, vcc_lo, v24, v16
	v_add_co_ci_u32_e32 v17, vcc_lo, v25, v17, vcc_lo
	s_clause 0x1
	global_load_b32 v34, v[33:34], off
	global_load_b32 v39, v[16:17], off
	ds_load_2addr_b32 v[16:17], v21 offset1:3
	ds_load_u16 v33, v21 offset:6
	ds_load_u16 v40, v21 offset:8
	s_waitcnt vmcnt(7) lgkmcnt(2)
	v_dot2acc_f32_f16 v32, v16, v45
	ds_load_u16 v16, v21 offset:18
	ds_load_u16 v41, v21 offset:20
	;; [unrolled: 1-line block ×6, first 2 shown]
	s_waitcnt vmcnt(6) lgkmcnt(7)
	v_fma_mix_f32 v47, v33, v46, v32 op_sel_hi:[1,1,0]
	ds_load_2addr_b32 v[32:33], v21 offset0:6 offset1:9
	s_waitcnt lgkmcnt(7)
	v_fma_mix_f32 v40, v40, v46, v47 op_sel:[0,1,0] op_sel_hi:[1,1,0]
	s_waitcnt vmcnt(5)
	s_delay_alu instid0(VALU_DEP_1) | instskip(SKIP_1) | instid1(VALU_DEP_1)
	v_dot2acc_f32_f16 v40, v17, v37
	s_waitcnt vmcnt(4) lgkmcnt(6)
	v_fma_mix_f32 v16, v16, v38, v40 op_sel_hi:[1,1,0]
	s_waitcnt lgkmcnt(5)
	s_delay_alu instid0(VALU_DEP_1) | instskip(SKIP_1) | instid1(VALU_DEP_1)
	v_fma_mix_f32 v16, v41, v38, v16 op_sel:[0,1,0] op_sel_hi:[1,1,0]
	s_waitcnt vmcnt(3) lgkmcnt(0)
	v_dot2acc_f32_f16 v16, v32, v35
	s_waitcnt vmcnt(2)
	s_delay_alu instid0(VALU_DEP_1) | instskip(NEXT) | instid1(VALU_DEP_1)
	v_fma_mix_f32 v16, v42, v36, v16 op_sel_hi:[1,1,0]
	v_fma_mix_f32 v16, v43, v36, v16 op_sel:[0,1,0] op_sel_hi:[1,1,0]
	s_waitcnt vmcnt(1)
	s_delay_alu instid0(VALU_DEP_1) | instskip(SKIP_1) | instid1(VALU_DEP_1)
	v_dot2acc_f32_f16 v16, v33, v34
	s_waitcnt vmcnt(0)
	v_fma_mix_f32 v16, v44, v39, v16 op_sel_hi:[1,1,0]
	s_delay_alu instid0(VALU_DEP_1)
	v_fma_mix_f32 v32, v45, v39, v16 op_sel:[0,1,0] op_sel_hi:[1,1,0]
	s_branch .LBB14_10
.LBB14_15:                              ;   in Loop: Header=BB14_8 Depth=1
	s_or_b32 exec_lo, exec_lo, s15
.LBB14_16:                              ;   in Loop: Header=BB14_8 Depth=1
	s_delay_alu instid0(SALU_CYCLE_1)
	s_or_b32 exec_lo, exec_lo, s11
	s_and_saveexec_b32 s1, s0
	s_cbranch_execz .LBB14_7
; %bb.17:                               ;   in Loop: Header=BB14_8 Depth=1
	v_mul_f32_e32 v0, s2, v32
	s_and_b32 vcc_lo, exec_lo, s13
	s_cbranch_vccz .LBB14_23
; %bb.18:                               ;   in Loop: Header=BB14_8 Depth=1
	s_and_b32 vcc_lo, exec_lo, s14
	s_mov_b32 s11, -1
	s_cbranch_vccz .LBB14_20
; %bb.19:                               ;   in Loop: Header=BB14_8 Depth=1
	global_load_b32 v1, v[6:7], off
	s_mov_b32 s11, 0
	s_waitcnt vmcnt(0)
	v_fma_f32 v1, s12, v1, v0
	global_store_b32 v[6:7], v1, off
.LBB14_20:                              ;   in Loop: Header=BB14_8 Depth=1
	s_and_not1_b32 vcc_lo, exec_lo, s11
	s_cbranch_vccnz .LBB14_22
; %bb.21:                               ;   in Loop: Header=BB14_8 Depth=1
	global_load_b32 v1, v[8:9], off
	s_waitcnt vmcnt(0)
	v_fma_f32 v1, s12, v1, v0
	global_store_b32 v[8:9], v1, off
.LBB14_22:                              ;   in Loop: Header=BB14_8 Depth=1
	s_cbranch_execnz .LBB14_7
	s_branch .LBB14_24
.LBB14_23:                              ;   in Loop: Header=BB14_8 Depth=1
.LBB14_24:                              ;   in Loop: Header=BB14_8 Depth=1
	s_and_b32 vcc_lo, exec_lo, s14
	s_mov_b32 s11, -1
	s_cbranch_vccz .LBB14_26
; %bb.25:                               ;   in Loop: Header=BB14_8 Depth=1
	s_mov_b32 s11, 0
	global_store_b32 v[6:7], v0, off
.LBB14_26:                              ;   in Loop: Header=BB14_8 Depth=1
	s_and_not1_b32 vcc_lo, exec_lo, s11
	s_cbranch_vccnz .LBB14_7
; %bb.27:                               ;   in Loop: Header=BB14_8 Depth=1
	global_store_b32 v[8:9], v0, off
	s_branch .LBB14_7
.LBB14_28:
	s_nop 0
	s_sendmsg sendmsg(MSG_DEALLOC_VGPRS)
	s_endpgm
	.section	.rodata,"a",@progbits
	.p2align	6, 0x0
	.amdhsa_kernel _ZN9rocsparseL29bsrmmnn_small_blockdim_kernelILj64ELj8ELj2EllDF16_DF16_ffEEv20rocsparse_direction_T3_S2_llNS_24const_host_device_scalarIT7_EEPKT2_PKS2_PKT4_PKT5_llS5_PT6_ll16rocsparse_order_21rocsparse_index_base_b
		.amdhsa_group_segment_fixed_size 896
		.amdhsa_private_segment_fixed_size 0
		.amdhsa_kernarg_size 400
		.amdhsa_user_sgpr_count 14
		.amdhsa_user_sgpr_dispatch_ptr 0
		.amdhsa_user_sgpr_queue_ptr 0
		.amdhsa_user_sgpr_kernarg_segment_ptr 1
		.amdhsa_user_sgpr_dispatch_id 0
		.amdhsa_user_sgpr_private_segment_size 0
		.amdhsa_wavefront_size32 1
		.amdhsa_uses_dynamic_stack 0
		.amdhsa_enable_private_segment 0
		.amdhsa_system_sgpr_workgroup_id_x 1
		.amdhsa_system_sgpr_workgroup_id_y 1
		.amdhsa_system_sgpr_workgroup_id_z 0
		.amdhsa_system_sgpr_workgroup_info 0
		.amdhsa_system_vgpr_workitem_id 0
		.amdhsa_next_free_vgpr 48
		.amdhsa_next_free_sgpr 28
		.amdhsa_reserve_vcc 1
		.amdhsa_float_round_mode_32 0
		.amdhsa_float_round_mode_16_64 0
		.amdhsa_float_denorm_mode_32 3
		.amdhsa_float_denorm_mode_16_64 3
		.amdhsa_dx10_clamp 1
		.amdhsa_ieee_mode 1
		.amdhsa_fp16_overflow 0
		.amdhsa_workgroup_processor_mode 1
		.amdhsa_memory_ordered 1
		.amdhsa_forward_progress 0
		.amdhsa_shared_vgpr_count 0
		.amdhsa_exception_fp_ieee_invalid_op 0
		.amdhsa_exception_fp_denorm_src 0
		.amdhsa_exception_fp_ieee_div_zero 0
		.amdhsa_exception_fp_ieee_overflow 0
		.amdhsa_exception_fp_ieee_underflow 0
		.amdhsa_exception_fp_ieee_inexact 0
		.amdhsa_exception_int_div_zero 0
	.end_amdhsa_kernel
	.section	.text._ZN9rocsparseL29bsrmmnn_small_blockdim_kernelILj64ELj8ELj2EllDF16_DF16_ffEEv20rocsparse_direction_T3_S2_llNS_24const_host_device_scalarIT7_EEPKT2_PKS2_PKT4_PKT5_llS5_PT6_ll16rocsparse_order_21rocsparse_index_base_b,"axG",@progbits,_ZN9rocsparseL29bsrmmnn_small_blockdim_kernelILj64ELj8ELj2EllDF16_DF16_ffEEv20rocsparse_direction_T3_S2_llNS_24const_host_device_scalarIT7_EEPKT2_PKS2_PKT4_PKT5_llS5_PT6_ll16rocsparse_order_21rocsparse_index_base_b,comdat
.Lfunc_end14:
	.size	_ZN9rocsparseL29bsrmmnn_small_blockdim_kernelILj64ELj8ELj2EllDF16_DF16_ffEEv20rocsparse_direction_T3_S2_llNS_24const_host_device_scalarIT7_EEPKT2_PKS2_PKT4_PKT5_llS5_PT6_ll16rocsparse_order_21rocsparse_index_base_b, .Lfunc_end14-_ZN9rocsparseL29bsrmmnn_small_blockdim_kernelILj64ELj8ELj2EllDF16_DF16_ffEEv20rocsparse_direction_T3_S2_llNS_24const_host_device_scalarIT7_EEPKT2_PKS2_PKT4_PKT5_llS5_PT6_ll16rocsparse_order_21rocsparse_index_base_b
                                        ; -- End function
	.section	.AMDGPU.csdata,"",@progbits
; Kernel info:
; codeLenInByte = 1800
; NumSgprs: 30
; NumVgprs: 48
; ScratchSize: 0
; MemoryBound: 0
; FloatMode: 240
; IeeeMode: 1
; LDSByteSize: 896 bytes/workgroup (compile time only)
; SGPRBlocks: 3
; VGPRBlocks: 5
; NumSGPRsForWavesPerEU: 30
; NumVGPRsForWavesPerEU: 48
; Occupancy: 16
; WaveLimiterHint : 1
; COMPUTE_PGM_RSRC2:SCRATCH_EN: 0
; COMPUTE_PGM_RSRC2:USER_SGPR: 14
; COMPUTE_PGM_RSRC2:TRAP_HANDLER: 0
; COMPUTE_PGM_RSRC2:TGID_X_EN: 1
; COMPUTE_PGM_RSRC2:TGID_Y_EN: 1
; COMPUTE_PGM_RSRC2:TGID_Z_EN: 0
; COMPUTE_PGM_RSRC2:TIDIG_COMP_CNT: 0
	.section	.text._ZN9rocsparseL29bsrmmnn_small_blockdim_kernelILj64ELj8ELj2EiiaaiiEEv20rocsparse_direction_T3_S2_llNS_24const_host_device_scalarIT7_EEPKT2_PKS2_PKT4_PKT5_llS5_PT6_ll16rocsparse_order_21rocsparse_index_base_b,"axG",@progbits,_ZN9rocsparseL29bsrmmnn_small_blockdim_kernelILj64ELj8ELj2EiiaaiiEEv20rocsparse_direction_T3_S2_llNS_24const_host_device_scalarIT7_EEPKT2_PKS2_PKT4_PKT5_llS5_PT6_ll16rocsparse_order_21rocsparse_index_base_b,comdat
	.globl	_ZN9rocsparseL29bsrmmnn_small_blockdim_kernelILj64ELj8ELj2EiiaaiiEEv20rocsparse_direction_T3_S2_llNS_24const_host_device_scalarIT7_EEPKT2_PKS2_PKT4_PKT5_llS5_PT6_ll16rocsparse_order_21rocsparse_index_base_b ; -- Begin function _ZN9rocsparseL29bsrmmnn_small_blockdim_kernelILj64ELj8ELj2EiiaaiiEEv20rocsparse_direction_T3_S2_llNS_24const_host_device_scalarIT7_EEPKT2_PKS2_PKT4_PKT5_llS5_PT6_ll16rocsparse_order_21rocsparse_index_base_b
	.p2align	8
	.type	_ZN9rocsparseL29bsrmmnn_small_blockdim_kernelILj64ELj8ELj2EiiaaiiEEv20rocsparse_direction_T3_S2_llNS_24const_host_device_scalarIT7_EEPKT2_PKS2_PKT4_PKT5_llS5_PT6_ll16rocsparse_order_21rocsparse_index_base_b,@function
_ZN9rocsparseL29bsrmmnn_small_blockdim_kernelILj64ELj8ELj2EiiaaiiEEv20rocsparse_direction_T3_S2_llNS_24const_host_device_scalarIT7_EEPKT2_PKS2_PKT4_PKT5_llS5_PT6_ll16rocsparse_order_21rocsparse_index_base_b: ; @_ZN9rocsparseL29bsrmmnn_small_blockdim_kernelILj64ELj8ELj2EiiaaiiEEv20rocsparse_direction_T3_S2_llNS_24const_host_device_scalarIT7_EEPKT2_PKS2_PKT4_PKT5_llS5_PT6_ll16rocsparse_order_21rocsparse_index_base_b
; %bb.0:
	s_clause 0x1
	s_load_b128 s[16:19], s[0:1], 0x78
	s_load_b64 s[4:5], s[0:1], 0x20
	s_mov_b32 s7, -1
                                        ; implicit-def: $sgpr12
	s_waitcnt lgkmcnt(0)
	s_bitcmp1_b32 s18, 0
	s_cselect_b32 s2, -1, 0
	s_delay_alu instid0(SALU_CYCLE_1) | instskip(NEXT) | instid1(SALU_CYCLE_1)
	s_xor_b32 s6, s2, -1
	s_and_b32 vcc_lo, exec_lo, s6
	s_cbranch_vccnz .LBB15_4
; %bb.1:
	s_load_b64 s[2:3], s[0:1], 0x58
	s_and_not1_b32 vcc_lo, exec_lo, s7
	s_cbranch_vccz .LBB15_5
.LBB15_2:
	s_and_b32 vcc_lo, exec_lo, s6
	s_cbranch_vccz .LBB15_6
.LBB15_3:
	s_waitcnt lgkmcnt(0)
	s_load_b32 s3, s[2:3], 0x0
	s_cbranch_execz .LBB15_7
	s_branch .LBB15_8
.LBB15_4:
	s_load_b32 s12, s[4:5], 0x0
	s_load_b64 s[2:3], s[0:1], 0x58
	s_cbranch_execnz .LBB15_2
.LBB15_5:
	s_waitcnt lgkmcnt(0)
	s_mov_b32 s12, s4
	s_and_b32 vcc_lo, exec_lo, s6
	s_cbranch_vccnz .LBB15_3
.LBB15_6:
                                        ; implicit-def: $sgpr3
.LBB15_7:
	s_waitcnt lgkmcnt(0)
	s_mov_b32 s3, s2
.LBB15_8:
	s_waitcnt lgkmcnt(0)
	s_cmp_eq_u32 s12, 0
	s_cselect_b32 s2, -1, 0
	s_cmp_eq_u32 s3, 1
	s_cselect_b32 s4, -1, 0
	s_delay_alu instid0(SALU_CYCLE_1) | instskip(NEXT) | instid1(SALU_CYCLE_1)
	s_and_b32 s2, s2, s4
	s_and_b32 vcc_lo, exec_lo, s2
	s_cbranch_vccnz .LBB15_32
; %bb.9:
	s_clause 0x1
	s_load_b32 s2, s[0:1], 0x88
	s_load_b128 s[20:23], s[0:1], 0x0
	s_add_u32 s4, s0, 0x88
	s_addc_u32 s5, s1, 0
	v_mov_b32_e32 v2, 0
	s_waitcnt lgkmcnt(0)
	s_cmp_lt_u32 s14, s2
	s_cselect_b32 s6, 12, 18
	s_delay_alu instid0(SALU_CYCLE_1)
	s_add_u32 s4, s4, s6
	s_addc_u32 s5, s5, 0
	global_load_u16 v5, v2, s[4:5]
	s_mov_b32 s4, exec_lo
	s_waitcnt vmcnt(0)
	v_mad_u64_u32 v[3:4], null, s14, v5, v[0:1]
	s_delay_alu instid0(VALU_DEP_1) | instskip(NEXT) | instid1(VALU_DEP_1)
	v_lshrrev_b32_e32 v1, 4, v3
	v_cmpx_gt_i32_e64 s21, v1
	s_cbranch_execz .LBB15_32
; %bb.10:
	s_clause 0x1
	s_load_b128 s[24:27], s[0:1], 0x60
	s_load_b256 s[4:11], s[0:1], 0x28
	v_lshrrev_b32_e32 v9, 3, v3
	v_mul_lo_u32 v4, s2, v5
	s_load_b64 s[18:19], s[0:1], 0x48
	v_lshrrev_b32_e32 v0, 3, v0
	v_bfe_u32 v19, v3, 3, 1
	v_lshlrev_b32_e32 v20, 2, v9
	s_cmp_lg_u32 s3, 0
	s_delay_alu instid0(VALU_DEP_3)
	v_lshlrev_b32_e32 v12, 5, v0
	v_lshrrev_b32_e32 v13, 4, v4
	s_cselect_b32 s1, -1, 0
	s_cmp_lg_u32 s16, 1
	s_cselect_b32 s2, -1, 0
	s_cmp_eq_u32 s20, 0
	s_waitcnt lgkmcnt(0)
	v_mad_u64_u32 v[5:6], null, v9, s26, 0
	v_and_b32_e32 v11, 7, v3
	v_mul_u32_u24_e32 v3, 24, v0
	s_delay_alu instid0(VALU_DEP_3) | instskip(NEXT) | instid1(VALU_DEP_3)
	v_mov_b32_e32 v0, v6
	v_lshl_or_b32 v7, s15, 3, v11
	s_delay_alu instid0(VALU_DEP_3) | instskip(SKIP_1) | instid1(VALU_DEP_4)
	v_or_b32_e32 v15, 0x100, v3
	v_lshl_or_b32 v14, v11, 2, v12
	v_mad_u64_u32 v[3:4], null, v9, s27, v[0:1]
	s_delay_alu instid0(VALU_DEP_4) | instskip(SKIP_3) | instid1(VALU_DEP_4)
	v_ashrrev_i32_e32 v8, 31, v7
	v_mul_lo_u32 v21, v7, s27
	v_mad_u64_u32 v[9:10], null, v7, s26, 0
	v_mul_lo_u32 v22, v7, s19
	v_mul_lo_u32 v0, v8, s26
	v_lshlrev_b64 v[17:18], 2, v[7:8]
	v_mul_lo_u32 v8, v8, s18
	v_mov_b32_e32 v6, v3
	v_mad_u64_u32 v[3:4], null, v7, s18, s[10:11]
	v_cmp_gt_i32_e64 s0, s22, v7
	s_cselect_b32 s11, -1, 0
	v_add3_u32 v10, v10, v21, v0
	v_lshlrev_b64 v[5:6], 2, v[5:6]
	v_add_co_u32 v0, vcc_lo, s24, v17
	v_add_co_ci_u32_e32 v17, vcc_lo, s25, v18, vcc_lo
	v_add3_u32 v4, v8, v4, v22
	v_lshlrev_b64 v[7:8], 2, v[9:10]
	s_delay_alu instid0(VALU_DEP_4) | instskip(NEXT) | instid1(VALU_DEP_4)
	v_add_co_u32 v5, vcc_lo, v0, v5
	v_add_co_ci_u32_e32 v6, vcc_lo, v17, v6, vcc_lo
	v_cndmask_b32_e64 v9, 0, 1, s11
	s_delay_alu instid0(VALU_DEP_4) | instskip(SKIP_1) | instid1(VALU_DEP_3)
	v_add_co_u32 v0, vcc_lo, s24, v7
	v_add_co_ci_u32_e32 v8, vcc_lo, s25, v8, vcc_lo
	v_lshlrev_b32_e32 v17, v9, v19
	s_delay_alu instid0(VALU_DEP_3) | instskip(SKIP_1) | instid1(VALU_DEP_4)
	v_add_co_u32 v7, vcc_lo, v0, v20
	v_mad_u32_u24 v16, v11, 3, v15
	v_add_co_ci_u32_e32 v8, vcc_lo, 0, v8, vcc_lo
	v_subrev_nc_u32_e32 v18, s17, v11
	s_and_b32 s11, s11, exec_lo
	s_mov_b32 s10, 0
	s_cselect_b32 s11, 1, 2
	s_branch .LBB15_12
.LBB15_11:                              ;   in Loop: Header=BB15_12 Depth=1
	s_or_b32 exec_lo, exec_lo, s13
	v_add_nc_u32_e32 v1, v1, v13
	s_delay_alu instid0(VALU_DEP_1) | instskip(SKIP_1) | instid1(SALU_CYCLE_1)
	v_cmp_le_i32_e32 vcc_lo, s21, v1
	s_or_b32 s10, vcc_lo, s10
	s_and_not1_b32 exec_lo, exec_lo, s10
	s_cbranch_execz .LBB15_32
.LBB15_12:                              ; =>This Loop Header: Depth=1
                                        ;     Child Loop BB15_15 Depth 2
	v_lshlrev_b64 v[9:10], 2, v[1:2]
	v_mov_b32_e32 v0, 0
	s_mov_b32 s13, exec_lo
	s_delay_alu instid0(VALU_DEP_2) | instskip(NEXT) | instid1(VALU_DEP_3)
	v_add_co_u32 v9, vcc_lo, s4, v9
	v_add_co_ci_u32_e32 v10, vcc_lo, s5, v10, vcc_lo
	global_load_b64 v[9:10], v[9:10], off
	s_waitcnt vmcnt(0)
	v_cmpx_lt_i32_e64 v9, v10
	s_cbranch_execz .LBB15_20
; %bb.13:                               ;   in Loop: Header=BB15_12 Depth=1
	v_add_nc_u32_e32 v0, v18, v9
	v_subrev_nc_u32_e32 v19, s17, v10
	v_subrev_nc_u32_e32 v20, s17, v9
	s_mov_b32 s14, 0
	s_delay_alu instid0(VALU_DEP_3)
	v_lshl_or_b32 v21, v0, 2, v17
	v_mov_b32_e32 v0, 0
	s_branch .LBB15_15
.LBB15_14:                              ;   in Loop: Header=BB15_15 Depth=2
	s_or_b32 exec_lo, exec_lo, s15
	v_add_nc_u32_e32 v20, 8, v20
	v_add_nc_u32_e32 v21, 32, v21
	s_delay_alu instid0(VALU_DEP_2) | instskip(SKIP_1) | instid1(SALU_CYCLE_1)
	v_cmp_ge_i32_e32 vcc_lo, v20, v19
	s_or_b32 s14, vcc_lo, s14
	s_and_not1_b32 exec_lo, exec_lo, s14
	s_cbranch_execz .LBB15_19
.LBB15_15:                              ;   Parent Loop BB15_12 Depth=1
                                        ; =>  This Inner Loop Header: Depth=2
	v_dual_mov_b32 v10, 0 :: v_dual_add_nc_u32 v9, v11, v20
	v_dual_mov_b32 v23, 0 :: v_dual_mov_b32 v22, 0
	s_mov_b32 s15, exec_lo
	s_delay_alu instid0(VALU_DEP_2)
	v_cmpx_lt_i32_e64 v9, v19
	s_cbranch_execz .LBB15_17
; %bb.16:                               ;   in Loop: Header=BB15_15 Depth=2
	v_ashrrev_i32_e32 v10, 31, v9
	v_add_nc_u32_e32 v22, s11, v21
	s_delay_alu instid0(VALU_DEP_2) | instskip(NEXT) | instid1(VALU_DEP_1)
	v_lshlrev_b64 v[9:10], 2, v[9:10]
	v_add_co_u32 v9, vcc_lo, s6, v9
	s_delay_alu instid0(VALU_DEP_2)
	v_add_co_ci_u32_e32 v10, vcc_lo, s7, v10, vcc_lo
	global_load_b32 v9, v[9:10], off
	s_clause 0x1
	global_load_u8 v10, v21, s[8:9]
	global_load_u8 v22, v22, s[8:9]
	s_waitcnt vmcnt(2)
	v_subrev_nc_u32_e32 v9, s17, v9
	s_delay_alu instid0(VALU_DEP_1)
	v_lshlrev_b32_e32 v23, 1, v9
.LBB15_17:                              ;   in Loop: Header=BB15_15 Depth=2
	s_or_b32 exec_lo, exec_lo, s15
	ds_store_b32 v14, v23
	s_waitcnt vmcnt(1)
	ds_store_b8 v16, v10
	s_waitcnt vmcnt(0)
	ds_store_b8 v16, v22 offset:1
	s_waitcnt lgkmcnt(0)
	s_waitcnt_vscnt null, 0x0
	s_barrier
	buffer_gl0_inv
	s_and_saveexec_b32 s15, s0
	s_cbranch_execz .LBB15_14
; %bb.18:                               ;   in Loop: Header=BB15_15 Depth=2
	ds_load_b128 v[22:25], v12
	ds_load_b128 v[26:29], v12 offset:16
	s_waitcnt lgkmcnt(1)
	v_ashrrev_i32_e32 v10, 31, v22
	v_ashrrev_i32_e32 v30, 31, v23
	v_add_co_u32 v9, vcc_lo, v3, v22
	v_ashrrev_i32_e32 v31, 31, v24
	s_delay_alu instid0(VALU_DEP_4)
	v_add_co_ci_u32_e32 v10, vcc_lo, v4, v10, vcc_lo
	v_add_co_u32 v22, vcc_lo, v3, v23
	v_add_co_ci_u32_e32 v23, vcc_lo, v4, v30, vcc_lo
	v_ashrrev_i32_e32 v32, 31, v25
	v_add_co_u32 v30, vcc_lo, v3, v24
	v_add_co_ci_u32_e32 v31, vcc_lo, v4, v31, vcc_lo
	v_add_co_u32 v24, vcc_lo, v3, v25
	s_waitcnt lgkmcnt(0)
	v_ashrrev_i32_e32 v33, 31, v26
	v_add_co_ci_u32_e32 v25, vcc_lo, v4, v32, vcc_lo
	v_ashrrev_i32_e32 v32, 31, v27
	s_clause 0x3
	global_load_u16 v34, v[9:10], off
	global_load_u16 v35, v[22:23], off
	;; [unrolled: 1-line block ×4, first 2 shown]
	v_add_co_u32 v9, vcc_lo, v3, v26
	v_add_co_ci_u32_e32 v10, vcc_lo, v4, v33, vcc_lo
	v_add_co_u32 v22, vcc_lo, v3, v27
	v_ashrrev_i32_e32 v25, 31, v28
	v_add_co_ci_u32_e32 v23, vcc_lo, v4, v32, vcc_lo
	v_ashrrev_i32_e32 v27, 31, v29
	v_add_co_u32 v24, vcc_lo, v3, v28
	s_delay_alu instid0(VALU_DEP_4) | instskip(SKIP_1) | instid1(VALU_DEP_4)
	v_add_co_ci_u32_e32 v25, vcc_lo, v4, v25, vcc_lo
	v_add_co_u32 v26, vcc_lo, v3, v29
	v_add_co_ci_u32_e32 v27, vcc_lo, v4, v27, vcc_lo
	s_clause 0x3
	global_load_u16 v9, v[9:10], off
	global_load_u16 v10, v[22:23], off
	;; [unrolled: 1-line block ×4, first 2 shown]
	ds_load_u16 v24, v15
	ds_load_i8 v25, v15 offset:3
	ds_load_i8 v26, v15 offset:4
	ds_load_u16 v27, v15 offset:6
	ds_load_i8 v28, v15 offset:9
	ds_load_i8 v29, v15 offset:10
	ds_load_u16 v32, v15 offset:12
	;; [unrolled: 3-line block ×3, first 2 shown]
	ds_load_i8 v38, v15 offset:21
	ds_load_i8 v39, v15 offset:22
	s_waitcnt lgkmcnt(11)
	v_perm_b32 v24, v24, v24, 0xc0c0100
	s_waitcnt lgkmcnt(9)
	v_perm_b32 v25, v26, v25, 0x4000c0c
	;; [unrolled: 2-line block ×5, first 2 shown]
	v_or_b32_e32 v24, v25, v24
	s_waitcnt lgkmcnt(3)
	v_perm_b32 v29, v36, v33, 0x4000c0c
	v_or_b32_e32 v26, v27, v26
	s_waitcnt vmcnt(6)
	v_perm_b32 v25, v35, v34, 0x5040100
	s_waitcnt vmcnt(4)
	v_perm_b32 v27, v31, v30, 0x5040100
	s_delay_alu instid0(VALU_DEP_2) | instskip(SKIP_3) | instid1(VALU_DEP_3)
	v_dot4_i32_iu8 v0, v25, v24, v0 neg_lo:[1,1,0]
	s_waitcnt lgkmcnt(2)
	v_perm_b32 v24, v37, v37, 0xc0c0100
	v_or_b32_e32 v25, v29, v28
	v_dot4_i32_iu8 v0, v27, v26, v0 neg_lo:[1,1,0]
	s_waitcnt vmcnt(2)
	v_perm_b32 v9, v10, v9, 0x5040100
	s_waitcnt lgkmcnt(0)
	v_perm_b32 v10, v39, v38, 0x4000c0c
	s_waitcnt vmcnt(0)
	v_perm_b32 v22, v23, v22, 0x5040100
	v_dot4_i32_iu8 v0, v9, v25, v0 neg_lo:[1,1,0]
	s_delay_alu instid0(VALU_DEP_3) | instskip(NEXT) | instid1(VALU_DEP_1)
	v_or_b32_e32 v9, v10, v24
	v_dot4_i32_iu8 v0, v22, v9, v0 neg_lo:[1,1,0]
	s_branch .LBB15_14
.LBB15_19:                              ;   in Loop: Header=BB15_12 Depth=1
	s_or_b32 exec_lo, exec_lo, s14
.LBB15_20:                              ;   in Loop: Header=BB15_12 Depth=1
	s_delay_alu instid0(SALU_CYCLE_1)
	s_or_b32 exec_lo, exec_lo, s13
	s_and_saveexec_b32 s13, s0
	s_cbranch_execz .LBB15_11
; %bb.21:                               ;   in Loop: Header=BB15_12 Depth=1
	v_mul_lo_u32 v0, v0, s12
	s_and_b32 vcc_lo, exec_lo, s1
	s_cbranch_vccz .LBB15_27
; %bb.22:                               ;   in Loop: Header=BB15_12 Depth=1
	s_and_b32 vcc_lo, exec_lo, s2
	s_mov_b32 s14, -1
	s_cbranch_vccz .LBB15_24
; %bb.23:                               ;   in Loop: Header=BB15_12 Depth=1
	global_load_b32 v19, v[5:6], off
	s_mov_b32 s14, 0
	s_waitcnt vmcnt(0)
	v_mad_u64_u32 v[9:10], null, v19, s3, v[0:1]
	global_store_b32 v[5:6], v9, off
.LBB15_24:                              ;   in Loop: Header=BB15_12 Depth=1
	s_and_not1_b32 vcc_lo, exec_lo, s14
	s_cbranch_vccnz .LBB15_26
; %bb.25:                               ;   in Loop: Header=BB15_12 Depth=1
	global_load_b32 v19, v[7:8], off
	s_waitcnt vmcnt(0)
	v_mad_u64_u32 v[9:10], null, v19, s3, v[0:1]
	global_store_b32 v[7:8], v9, off
.LBB15_26:                              ;   in Loop: Header=BB15_12 Depth=1
	s_cbranch_execnz .LBB15_11
	s_branch .LBB15_28
.LBB15_27:                              ;   in Loop: Header=BB15_12 Depth=1
.LBB15_28:                              ;   in Loop: Header=BB15_12 Depth=1
	s_and_b32 vcc_lo, exec_lo, s2
	s_mov_b32 s14, -1
	s_cbranch_vccz .LBB15_30
; %bb.29:                               ;   in Loop: Header=BB15_12 Depth=1
	s_mov_b32 s14, 0
	global_store_b32 v[5:6], v0, off
.LBB15_30:                              ;   in Loop: Header=BB15_12 Depth=1
	s_and_not1_b32 vcc_lo, exec_lo, s14
	s_cbranch_vccnz .LBB15_11
; %bb.31:                               ;   in Loop: Header=BB15_12 Depth=1
	global_store_b32 v[7:8], v0, off
	s_branch .LBB15_11
.LBB15_32:
	s_nop 0
	s_sendmsg sendmsg(MSG_DEALLOC_VGPRS)
	s_endpgm
	.section	.rodata,"a",@progbits
	.p2align	6, 0x0
	.amdhsa_kernel _ZN9rocsparseL29bsrmmnn_small_blockdim_kernelILj64ELj8ELj2EiiaaiiEEv20rocsparse_direction_T3_S2_llNS_24const_host_device_scalarIT7_EEPKT2_PKS2_PKT4_PKT5_llS5_PT6_ll16rocsparse_order_21rocsparse_index_base_b
		.amdhsa_group_segment_fixed_size 448
		.amdhsa_private_segment_fixed_size 0
		.amdhsa_kernarg_size 392
		.amdhsa_user_sgpr_count 14
		.amdhsa_user_sgpr_dispatch_ptr 0
		.amdhsa_user_sgpr_queue_ptr 0
		.amdhsa_user_sgpr_kernarg_segment_ptr 1
		.amdhsa_user_sgpr_dispatch_id 0
		.amdhsa_user_sgpr_private_segment_size 0
		.amdhsa_wavefront_size32 1
		.amdhsa_uses_dynamic_stack 0
		.amdhsa_enable_private_segment 0
		.amdhsa_system_sgpr_workgroup_id_x 1
		.amdhsa_system_sgpr_workgroup_id_y 1
		.amdhsa_system_sgpr_workgroup_id_z 0
		.amdhsa_system_sgpr_workgroup_info 0
		.amdhsa_system_vgpr_workitem_id 0
		.amdhsa_next_free_vgpr 40
		.amdhsa_next_free_sgpr 28
		.amdhsa_reserve_vcc 1
		.amdhsa_float_round_mode_32 0
		.amdhsa_float_round_mode_16_64 0
		.amdhsa_float_denorm_mode_32 3
		.amdhsa_float_denorm_mode_16_64 3
		.amdhsa_dx10_clamp 1
		.amdhsa_ieee_mode 1
		.amdhsa_fp16_overflow 0
		.amdhsa_workgroup_processor_mode 1
		.amdhsa_memory_ordered 1
		.amdhsa_forward_progress 0
		.amdhsa_shared_vgpr_count 0
		.amdhsa_exception_fp_ieee_invalid_op 0
		.amdhsa_exception_fp_denorm_src 0
		.amdhsa_exception_fp_ieee_div_zero 0
		.amdhsa_exception_fp_ieee_overflow 0
		.amdhsa_exception_fp_ieee_underflow 0
		.amdhsa_exception_fp_ieee_inexact 0
		.amdhsa_exception_int_div_zero 0
	.end_amdhsa_kernel
	.section	.text._ZN9rocsparseL29bsrmmnn_small_blockdim_kernelILj64ELj8ELj2EiiaaiiEEv20rocsparse_direction_T3_S2_llNS_24const_host_device_scalarIT7_EEPKT2_PKS2_PKT4_PKT5_llS5_PT6_ll16rocsparse_order_21rocsparse_index_base_b,"axG",@progbits,_ZN9rocsparseL29bsrmmnn_small_blockdim_kernelILj64ELj8ELj2EiiaaiiEEv20rocsparse_direction_T3_S2_llNS_24const_host_device_scalarIT7_EEPKT2_PKS2_PKT4_PKT5_llS5_PT6_ll16rocsparse_order_21rocsparse_index_base_b,comdat
.Lfunc_end15:
	.size	_ZN9rocsparseL29bsrmmnn_small_blockdim_kernelILj64ELj8ELj2EiiaaiiEEv20rocsparse_direction_T3_S2_llNS_24const_host_device_scalarIT7_EEPKT2_PKS2_PKT4_PKT5_llS5_PT6_ll16rocsparse_order_21rocsparse_index_base_b, .Lfunc_end15-_ZN9rocsparseL29bsrmmnn_small_blockdim_kernelILj64ELj8ELj2EiiaaiiEEv20rocsparse_direction_T3_S2_llNS_24const_host_device_scalarIT7_EEPKT2_PKS2_PKT4_PKT5_llS5_PT6_ll16rocsparse_order_21rocsparse_index_base_b
                                        ; -- End function
	.section	.AMDGPU.csdata,"",@progbits
; Kernel info:
; codeLenInByte = 1736
; NumSgprs: 30
; NumVgprs: 40
; ScratchSize: 0
; MemoryBound: 0
; FloatMode: 240
; IeeeMode: 1
; LDSByteSize: 448 bytes/workgroup (compile time only)
; SGPRBlocks: 3
; VGPRBlocks: 4
; NumSGPRsForWavesPerEU: 30
; NumVGPRsForWavesPerEU: 40
; Occupancy: 16
; WaveLimiterHint : 0
; COMPUTE_PGM_RSRC2:SCRATCH_EN: 0
; COMPUTE_PGM_RSRC2:USER_SGPR: 14
; COMPUTE_PGM_RSRC2:TRAP_HANDLER: 0
; COMPUTE_PGM_RSRC2:TGID_X_EN: 1
; COMPUTE_PGM_RSRC2:TGID_Y_EN: 1
; COMPUTE_PGM_RSRC2:TGID_Z_EN: 0
; COMPUTE_PGM_RSRC2:TIDIG_COMP_CNT: 0
	.section	.text._ZN9rocsparseL29bsrmmnn_small_blockdim_kernelILj64ELj8ELj2EliaaiiEEv20rocsparse_direction_T3_S2_llNS_24const_host_device_scalarIT7_EEPKT2_PKS2_PKT4_PKT5_llS5_PT6_ll16rocsparse_order_21rocsparse_index_base_b,"axG",@progbits,_ZN9rocsparseL29bsrmmnn_small_blockdim_kernelILj64ELj8ELj2EliaaiiEEv20rocsparse_direction_T3_S2_llNS_24const_host_device_scalarIT7_EEPKT2_PKS2_PKT4_PKT5_llS5_PT6_ll16rocsparse_order_21rocsparse_index_base_b,comdat
	.globl	_ZN9rocsparseL29bsrmmnn_small_blockdim_kernelILj64ELj8ELj2EliaaiiEEv20rocsparse_direction_T3_S2_llNS_24const_host_device_scalarIT7_EEPKT2_PKS2_PKT4_PKT5_llS5_PT6_ll16rocsparse_order_21rocsparse_index_base_b ; -- Begin function _ZN9rocsparseL29bsrmmnn_small_blockdim_kernelILj64ELj8ELj2EliaaiiEEv20rocsparse_direction_T3_S2_llNS_24const_host_device_scalarIT7_EEPKT2_PKS2_PKT4_PKT5_llS5_PT6_ll16rocsparse_order_21rocsparse_index_base_b
	.p2align	8
	.type	_ZN9rocsparseL29bsrmmnn_small_blockdim_kernelILj64ELj8ELj2EliaaiiEEv20rocsparse_direction_T3_S2_llNS_24const_host_device_scalarIT7_EEPKT2_PKS2_PKT4_PKT5_llS5_PT6_ll16rocsparse_order_21rocsparse_index_base_b,@function
_ZN9rocsparseL29bsrmmnn_small_blockdim_kernelILj64ELj8ELj2EliaaiiEEv20rocsparse_direction_T3_S2_llNS_24const_host_device_scalarIT7_EEPKT2_PKS2_PKT4_PKT5_llS5_PT6_ll16rocsparse_order_21rocsparse_index_base_b: ; @_ZN9rocsparseL29bsrmmnn_small_blockdim_kernelILj64ELj8ELj2EliaaiiEEv20rocsparse_direction_T3_S2_llNS_24const_host_device_scalarIT7_EEPKT2_PKS2_PKT4_PKT5_llS5_PT6_ll16rocsparse_order_21rocsparse_index_base_b
; %bb.0:
	s_clause 0x1
	s_load_b128 s[16:19], s[0:1], 0x78
	s_load_b64 s[4:5], s[0:1], 0x20
	s_mov_b32 s7, -1
                                        ; implicit-def: $sgpr12
	s_waitcnt lgkmcnt(0)
	s_bitcmp1_b32 s18, 0
	s_cselect_b32 s2, -1, 0
	s_delay_alu instid0(SALU_CYCLE_1) | instskip(NEXT) | instid1(SALU_CYCLE_1)
	s_xor_b32 s6, s2, -1
	s_and_b32 vcc_lo, exec_lo, s6
	s_cbranch_vccnz .LBB16_4
; %bb.1:
	s_load_b64 s[2:3], s[0:1], 0x58
	s_and_not1_b32 vcc_lo, exec_lo, s7
	s_cbranch_vccz .LBB16_5
.LBB16_2:
	s_and_b32 vcc_lo, exec_lo, s6
	s_cbranch_vccz .LBB16_6
.LBB16_3:
	s_waitcnt lgkmcnt(0)
	s_load_b32 s3, s[2:3], 0x0
	s_cbranch_execz .LBB16_7
	s_branch .LBB16_8
.LBB16_4:
	s_load_b32 s12, s[4:5], 0x0
	s_load_b64 s[2:3], s[0:1], 0x58
	s_cbranch_execnz .LBB16_2
.LBB16_5:
	s_waitcnt lgkmcnt(0)
	s_mov_b32 s12, s4
	s_and_b32 vcc_lo, exec_lo, s6
	s_cbranch_vccnz .LBB16_3
.LBB16_6:
                                        ; implicit-def: $sgpr3
.LBB16_7:
	s_waitcnt lgkmcnt(0)
	s_mov_b32 s3, s2
.LBB16_8:
	s_waitcnt lgkmcnt(0)
	s_cmp_eq_u32 s12, 0
	s_cselect_b32 s2, -1, 0
	s_cmp_eq_u32 s3, 1
	s_cselect_b32 s4, -1, 0
	s_delay_alu instid0(SALU_CYCLE_1) | instskip(NEXT) | instid1(SALU_CYCLE_1)
	s_and_b32 s2, s2, s4
	s_and_b32 vcc_lo, exec_lo, s2
	s_cbranch_vccnz .LBB16_32
; %bb.9:
	s_clause 0x1
	s_load_b32 s2, s[0:1], 0x88
	s_load_b128 s[20:23], s[0:1], 0x0
	s_add_u32 s4, s0, 0x88
	s_addc_u32 s5, s1, 0
	v_mov_b32_e32 v5, 0
	s_waitcnt lgkmcnt(0)
	s_cmp_lt_u32 s14, s2
	s_cselect_b32 s6, 12, 18
	s_delay_alu instid0(SALU_CYCLE_1)
	s_add_u32 s4, s4, s6
	s_addc_u32 s5, s5, 0
	global_load_u16 v3, v5, s[4:5]
	s_mov_b32 s4, exec_lo
	s_waitcnt vmcnt(0)
	v_mad_u64_u32 v[1:2], null, s14, v3, v[0:1]
	s_delay_alu instid0(VALU_DEP_1) | instskip(NEXT) | instid1(VALU_DEP_1)
	v_lshrrev_b32_e32 v4, 4, v1
	v_cmpx_gt_i32_e64 s21, v4
	s_cbranch_execz .LBB16_32
; %bb.10:
	s_clause 0x1
	s_load_b128 s[24:27], s[0:1], 0x60
	s_load_b256 s[4:11], s[0:1], 0x28
	v_lshrrev_b32_e32 v8, 3, v1
	s_load_b64 s[18:19], s[0:1], 0x48
	v_and_b32_e32 v16, 7, v1
	v_mul_lo_u32 v3, s2, v3
	v_lshrrev_b32_e32 v6, 3, v0
	v_bfe_u32 v12, v1, 3, 1
	v_lshlrev_b32_e32 v13, 2, v8
	v_lshl_or_b32 v2, s15, 3, v16
	s_cmp_lg_u32 s3, 0
	v_lshlrev_b32_e32 v17, 5, v6
	v_mul_u32_u24_e32 v6, 24, v6
	v_lshrrev_b32_e32 v18, 4, v3
	v_ashrrev_i32_e32 v3, 31, v2
	s_cselect_b32 s2, -1, 0
	s_cmp_lg_u32 s16, 1
	v_or_b32_e32 v20, 0x100, v6
	v_cmp_gt_i32_e64 s0, s22, v2
	v_lshlrev_b64 v[10:11], 2, v[2:3]
	s_waitcnt lgkmcnt(0)
	v_mad_u64_u32 v[0:1], null, v8, s26, 0
	v_mul_lo_u32 v14, v3, s26
	v_mul_lo_u32 v15, v2, s27
	;; [unrolled: 1-line block ×4, first 2 shown]
	v_add_co_u32 v10, vcc_lo, s24, v10
	v_mad_u64_u32 v[6:7], null, v8, s27, v[1:2]
	v_mad_u64_u32 v[8:9], null, v2, s26, 0
	v_add_co_ci_u32_e32 v11, vcc_lo, s25, v11, vcc_lo
	s_cselect_b32 s14, -1, 0
	s_cmp_eq_u32 s20, 0
	s_delay_alu instid0(VALU_DEP_3) | instskip(SKIP_1) | instid1(VALU_DEP_4)
	v_mov_b32_e32 v1, v6
	v_mad_u64_u32 v[6:7], null, v2, s18, s[10:11]
	v_add3_u32 v9, v9, v15, v14
	s_cselect_b32 s1, -1, 0
	s_delay_alu instid0(VALU_DEP_3)
	v_lshlrev_b64 v[0:1], 2, v[0:1]
	v_lshl_or_b32 v19, v16, 2, v17
	v_mad_u32_u24 v21, v16, 3, v20
	s_mov_b32 s13, 0
	v_add3_u32 v7, v3, v7, v22
	v_lshlrev_b64 v[2:3], 2, v[8:9]
	v_add_co_u32 v8, vcc_lo, v10, v0
	v_add_co_ci_u32_e32 v9, vcc_lo, v11, v1, vcc_lo
	v_sub_co_u32 v22, s10, v16, s17
	s_delay_alu instid0(VALU_DEP_4) | instskip(SKIP_2) | instid1(VALU_DEP_3)
	v_add_co_u32 v0, vcc_lo, s24, v2
	v_cndmask_b32_e64 v2, 0, 1, s1
	v_add_co_ci_u32_e32 v1, vcc_lo, s25, v3, vcc_lo
	v_add_co_u32 v10, vcc_lo, v0, v13
	s_delay_alu instid0(VALU_DEP_3) | instskip(NEXT) | instid1(VALU_DEP_3)
	v_lshlrev_b32_e32 v0, v2, v12
	v_add_co_ci_u32_e32 v11, vcc_lo, 0, v1, vcc_lo
	v_sub_co_ci_u32_e64 v23, null, 0, 0, s10
	s_delay_alu instid0(VALU_DEP_3) | instskip(NEXT) | instid1(VALU_DEP_1)
	v_add_co_u32 v24, s8, s8, v0
	v_add_co_ci_u32_e64 v25, null, s9, 0, s8
	s_and_b32 s1, s1, exec_lo
	s_mov_b32 s8, s17
	s_cselect_b32 s9, 1, 2
	s_branch .LBB16_12
.LBB16_11:                              ;   in Loop: Header=BB16_12 Depth=1
	s_or_b32 exec_lo, exec_lo, s1
	v_add_nc_u32_e32 v4, v4, v18
	s_delay_alu instid0(VALU_DEP_1) | instskip(SKIP_1) | instid1(SALU_CYCLE_1)
	v_cmp_le_i32_e32 vcc_lo, s21, v4
	s_or_b32 s13, vcc_lo, s13
	s_and_not1_b32 exec_lo, exec_lo, s13
	s_cbranch_execz .LBB16_32
.LBB16_12:                              ; =>This Loop Header: Depth=1
                                        ;     Child Loop BB16_15 Depth 2
	v_lshlrev_b64 v[0:1], 3, v[4:5]
	v_mov_b32_e32 v26, 0
	s_mov_b32 s10, exec_lo
	s_delay_alu instid0(VALU_DEP_2) | instskip(NEXT) | instid1(VALU_DEP_3)
	v_add_co_u32 v0, vcc_lo, s4, v0
	v_add_co_ci_u32_e32 v1, vcc_lo, s5, v1, vcc_lo
	global_load_b128 v[0:3], v[0:1], off
	s_waitcnt vmcnt(0)
	v_cmpx_lt_i64_e64 v[0:1], v[2:3]
	s_cbranch_execz .LBB16_20
; %bb.13:                               ;   in Loop: Header=BB16_12 Depth=1
	v_add_co_u32 v12, vcc_lo, v22, v0
	v_add_co_ci_u32_e32 v13, vcc_lo, v23, v1, vcc_lo
	v_sub_co_u32 v2, vcc_lo, v2, s8
	v_subrev_co_ci_u32_e32 v3, vcc_lo, 0, v3, vcc_lo
	s_delay_alu instid0(VALU_DEP_3) | instskip(SKIP_3) | instid1(VALU_DEP_4)
	v_lshlrev_b64 v[14:15], 2, v[12:13]
	v_sub_co_u32 v0, vcc_lo, v0, s8
	v_subrev_co_ci_u32_e32 v1, vcc_lo, 0, v1, vcc_lo
	v_mov_b32_e32 v26, 0
	v_add_co_u32 v12, vcc_lo, s6, v14
	v_add_co_ci_u32_e32 v13, vcc_lo, s7, v15, vcc_lo
	v_add_co_u32 v14, vcc_lo, v24, v14
	v_add_co_ci_u32_e32 v15, vcc_lo, v25, v15, vcc_lo
	s_mov_b32 s11, 0
	s_branch .LBB16_15
.LBB16_14:                              ;   in Loop: Header=BB16_15 Depth=2
	s_or_b32 exec_lo, exec_lo, s1
	v_add_co_u32 v0, vcc_lo, v0, 8
	v_add_co_ci_u32_e32 v1, vcc_lo, 0, v1, vcc_lo
	v_add_co_u32 v12, vcc_lo, v12, 32
	v_add_co_ci_u32_e32 v13, vcc_lo, 0, v13, vcc_lo
	s_delay_alu instid0(VALU_DEP_3) | instskip(SKIP_1) | instid1(VALU_DEP_1)
	v_cmp_ge_i64_e32 vcc_lo, v[0:1], v[2:3]
	v_add_co_u32 v14, s1, v14, 32
	v_add_co_ci_u32_e64 v15, s1, 0, v15, s1
	s_or_b32 s11, vcc_lo, s11
	s_delay_alu instid0(SALU_CYCLE_1)
	s_and_not1_b32 exec_lo, exec_lo, s11
	s_cbranch_execz .LBB16_19
.LBB16_15:                              ;   Parent Loop BB16_12 Depth=1
                                        ; =>  This Inner Loop Header: Depth=2
	v_add_co_u32 v27, vcc_lo, v16, v0
	v_add_co_ci_u32_e32 v28, vcc_lo, 0, v1, vcc_lo
	v_mov_b32_e32 v29, 0
	s_delay_alu instid0(VALU_DEP_2)
	v_cmp_lt_i64_e32 vcc_lo, v[27:28], v[2:3]
	v_dual_mov_b32 v28, 0 :: v_dual_mov_b32 v27, 0
	s_and_saveexec_b32 s1, vcc_lo
	s_cbranch_execz .LBB16_17
; %bb.16:                               ;   in Loop: Header=BB16_15 Depth=2
	global_load_b32 v30, v[12:13], off
	v_add_co_u32 v28, vcc_lo, v14, s9
	v_add_co_ci_u32_e32 v29, vcc_lo, 0, v15, vcc_lo
	s_clause 0x1
	global_load_u8 v27, v[14:15], off
	global_load_u8 v28, v[28:29], off
	s_waitcnt vmcnt(2)
	v_subrev_nc_u32_e32 v29, s17, v30
	s_delay_alu instid0(VALU_DEP_1)
	v_lshlrev_b32_e32 v29, 1, v29
.LBB16_17:                              ;   in Loop: Header=BB16_15 Depth=2
	s_or_b32 exec_lo, exec_lo, s1
	ds_store_b32 v19, v29
	s_waitcnt vmcnt(1)
	ds_store_b8 v21, v27
	s_waitcnt vmcnt(0)
	ds_store_b8 v21, v28 offset:1
	s_waitcnt lgkmcnt(0)
	s_waitcnt_vscnt null, 0x0
	s_barrier
	buffer_gl0_inv
	s_and_saveexec_b32 s1, s0
	s_cbranch_execz .LBB16_14
; %bb.18:                               ;   in Loop: Header=BB16_15 Depth=2
	ds_load_b128 v[27:30], v17
	ds_load_b128 v[31:34], v17 offset:16
	s_waitcnt lgkmcnt(1)
	v_ashrrev_i32_e32 v36, 31, v27
	v_ashrrev_i32_e32 v37, 31, v28
	v_add_co_u32 v35, vcc_lo, v6, v27
	v_ashrrev_i32_e32 v38, 31, v29
	s_delay_alu instid0(VALU_DEP_4)
	v_add_co_ci_u32_e32 v36, vcc_lo, v7, v36, vcc_lo
	v_add_co_u32 v27, vcc_lo, v6, v28
	v_add_co_ci_u32_e32 v28, vcc_lo, v7, v37, vcc_lo
	v_ashrrev_i32_e32 v39, 31, v30
	v_add_co_u32 v37, vcc_lo, v6, v29
	v_add_co_ci_u32_e32 v38, vcc_lo, v7, v38, vcc_lo
	v_add_co_u32 v29, vcc_lo, v6, v30
	s_waitcnt lgkmcnt(0)
	v_ashrrev_i32_e32 v40, 31, v31
	v_add_co_ci_u32_e32 v30, vcc_lo, v7, v39, vcc_lo
	v_ashrrev_i32_e32 v39, 31, v32
	s_clause 0x3
	global_load_u16 v35, v[35:36], off
	global_load_u16 v36, v[27:28], off
	;; [unrolled: 1-line block ×4, first 2 shown]
	v_add_co_u32 v27, vcc_lo, v6, v31
	v_add_co_ci_u32_e32 v28, vcc_lo, v7, v40, vcc_lo
	v_add_co_u32 v29, vcc_lo, v6, v32
	v_ashrrev_i32_e32 v32, 31, v33
	v_add_co_ci_u32_e32 v30, vcc_lo, v7, v39, vcc_lo
	v_ashrrev_i32_e32 v39, 31, v34
	v_add_co_u32 v31, vcc_lo, v6, v33
	s_delay_alu instid0(VALU_DEP_4) | instskip(SKIP_1) | instid1(VALU_DEP_4)
	v_add_co_ci_u32_e32 v32, vcc_lo, v7, v32, vcc_lo
	v_add_co_u32 v33, vcc_lo, v6, v34
	v_add_co_ci_u32_e32 v34, vcc_lo, v7, v39, vcc_lo
	s_clause 0x3
	global_load_u16 v27, v[27:28], off
	global_load_u16 v28, v[29:30], off
	;; [unrolled: 1-line block ×4, first 2 shown]
	ds_load_u16 v31, v20
	ds_load_i8 v32, v20 offset:3
	ds_load_i8 v33, v20 offset:4
	ds_load_u16 v34, v20 offset:6
	ds_load_i8 v39, v20 offset:9
	ds_load_i8 v40, v20 offset:10
	ds_load_u16 v41, v20 offset:12
	;; [unrolled: 3-line block ×3, first 2 shown]
	ds_load_i8 v45, v20 offset:21
	ds_load_i8 v46, v20 offset:22
	s_waitcnt lgkmcnt(11)
	v_perm_b32 v31, v31, v31, 0xc0c0100
	s_waitcnt lgkmcnt(9)
	v_perm_b32 v32, v33, v32, 0x4000c0c
	;; [unrolled: 2-line block ×4, first 2 shown]
	v_or_b32_e32 v31, v32, v31
	s_delay_alu instid0(VALU_DEP_2)
	v_or_b32_e32 v33, v34, v33
	s_waitcnt vmcnt(6)
	v_perm_b32 v32, v36, v35, 0x5040100
	s_waitcnt lgkmcnt(5)
	v_perm_b32 v35, v41, v41, 0xc0c0100
	s_waitcnt lgkmcnt(3)
	v_perm_b32 v36, v43, v42, 0x4000c0c
	s_waitcnt vmcnt(4)
	v_perm_b32 v34, v38, v37, 0x5040100
	v_dot4_i32_iu8 v26, v32, v31, v26 neg_lo:[1,1,0]
	s_waitcnt lgkmcnt(2)
	v_perm_b32 v31, v44, v44, 0xc0c0100
	v_or_b32_e32 v32, v36, v35
	s_delay_alu instid0(VALU_DEP_3)
	v_dot4_i32_iu8 v26, v34, v33, v26 neg_lo:[1,1,0]
	s_waitcnt vmcnt(2)
	v_perm_b32 v27, v28, v27, 0x5040100
	s_waitcnt lgkmcnt(0)
	v_perm_b32 v28, v46, v45, 0x4000c0c
	s_waitcnt vmcnt(0)
	v_perm_b32 v29, v30, v29, 0x5040100
	v_dot4_i32_iu8 v26, v27, v32, v26 neg_lo:[1,1,0]
	s_delay_alu instid0(VALU_DEP_3) | instskip(NEXT) | instid1(VALU_DEP_1)
	v_or_b32_e32 v27, v28, v31
	v_dot4_i32_iu8 v26, v29, v27, v26 neg_lo:[1,1,0]
	s_branch .LBB16_14
.LBB16_19:                              ;   in Loop: Header=BB16_12 Depth=1
	s_or_b32 exec_lo, exec_lo, s11
.LBB16_20:                              ;   in Loop: Header=BB16_12 Depth=1
	s_delay_alu instid0(SALU_CYCLE_1)
	s_or_b32 exec_lo, exec_lo, s10
	s_and_saveexec_b32 s1, s0
	s_cbranch_execz .LBB16_11
; %bb.21:                               ;   in Loop: Header=BB16_12 Depth=1
	v_mul_lo_u32 v0, v26, s12
	s_and_b32 vcc_lo, exec_lo, s2
	s_cbranch_vccz .LBB16_27
; %bb.22:                               ;   in Loop: Header=BB16_12 Depth=1
	s_and_b32 vcc_lo, exec_lo, s14
	s_mov_b32 s10, -1
	s_cbranch_vccz .LBB16_24
; %bb.23:                               ;   in Loop: Header=BB16_12 Depth=1
	global_load_b32 v3, v[8:9], off
	s_mov_b32 s10, 0
	s_waitcnt vmcnt(0)
	v_mad_u64_u32 v[1:2], null, v3, s3, v[0:1]
	global_store_b32 v[8:9], v1, off
.LBB16_24:                              ;   in Loop: Header=BB16_12 Depth=1
	s_and_not1_b32 vcc_lo, exec_lo, s10
	s_cbranch_vccnz .LBB16_26
; %bb.25:                               ;   in Loop: Header=BB16_12 Depth=1
	global_load_b32 v3, v[10:11], off
	s_waitcnt vmcnt(0)
	v_mad_u64_u32 v[1:2], null, v3, s3, v[0:1]
	global_store_b32 v[10:11], v1, off
.LBB16_26:                              ;   in Loop: Header=BB16_12 Depth=1
	s_cbranch_execnz .LBB16_11
	s_branch .LBB16_28
.LBB16_27:                              ;   in Loop: Header=BB16_12 Depth=1
.LBB16_28:                              ;   in Loop: Header=BB16_12 Depth=1
	s_and_b32 vcc_lo, exec_lo, s14
	s_mov_b32 s10, -1
	s_cbranch_vccz .LBB16_30
; %bb.29:                               ;   in Loop: Header=BB16_12 Depth=1
	s_mov_b32 s10, 0
	global_store_b32 v[8:9], v0, off
.LBB16_30:                              ;   in Loop: Header=BB16_12 Depth=1
	s_and_not1_b32 vcc_lo, exec_lo, s10
	s_cbranch_vccnz .LBB16_11
; %bb.31:                               ;   in Loop: Header=BB16_12 Depth=1
	global_store_b32 v[10:11], v0, off
	s_branch .LBB16_11
.LBB16_32:
	s_nop 0
	s_sendmsg sendmsg(MSG_DEALLOC_VGPRS)
	s_endpgm
	.section	.rodata,"a",@progbits
	.p2align	6, 0x0
	.amdhsa_kernel _ZN9rocsparseL29bsrmmnn_small_blockdim_kernelILj64ELj8ELj2EliaaiiEEv20rocsparse_direction_T3_S2_llNS_24const_host_device_scalarIT7_EEPKT2_PKS2_PKT4_PKT5_llS5_PT6_ll16rocsparse_order_21rocsparse_index_base_b
		.amdhsa_group_segment_fixed_size 448
		.amdhsa_private_segment_fixed_size 0
		.amdhsa_kernarg_size 392
		.amdhsa_user_sgpr_count 14
		.amdhsa_user_sgpr_dispatch_ptr 0
		.amdhsa_user_sgpr_queue_ptr 0
		.amdhsa_user_sgpr_kernarg_segment_ptr 1
		.amdhsa_user_sgpr_dispatch_id 0
		.amdhsa_user_sgpr_private_segment_size 0
		.amdhsa_wavefront_size32 1
		.amdhsa_uses_dynamic_stack 0
		.amdhsa_enable_private_segment 0
		.amdhsa_system_sgpr_workgroup_id_x 1
		.amdhsa_system_sgpr_workgroup_id_y 1
		.amdhsa_system_sgpr_workgroup_id_z 0
		.amdhsa_system_sgpr_workgroup_info 0
		.amdhsa_system_vgpr_workitem_id 0
		.amdhsa_next_free_vgpr 47
		.amdhsa_next_free_sgpr 28
		.amdhsa_reserve_vcc 1
		.amdhsa_float_round_mode_32 0
		.amdhsa_float_round_mode_16_64 0
		.amdhsa_float_denorm_mode_32 3
		.amdhsa_float_denorm_mode_16_64 3
		.amdhsa_dx10_clamp 1
		.amdhsa_ieee_mode 1
		.amdhsa_fp16_overflow 0
		.amdhsa_workgroup_processor_mode 1
		.amdhsa_memory_ordered 1
		.amdhsa_forward_progress 0
		.amdhsa_shared_vgpr_count 0
		.amdhsa_exception_fp_ieee_invalid_op 0
		.amdhsa_exception_fp_denorm_src 0
		.amdhsa_exception_fp_ieee_div_zero 0
		.amdhsa_exception_fp_ieee_overflow 0
		.amdhsa_exception_fp_ieee_underflow 0
		.amdhsa_exception_fp_ieee_inexact 0
		.amdhsa_exception_int_div_zero 0
	.end_amdhsa_kernel
	.section	.text._ZN9rocsparseL29bsrmmnn_small_blockdim_kernelILj64ELj8ELj2EliaaiiEEv20rocsparse_direction_T3_S2_llNS_24const_host_device_scalarIT7_EEPKT2_PKS2_PKT4_PKT5_llS5_PT6_ll16rocsparse_order_21rocsparse_index_base_b,"axG",@progbits,_ZN9rocsparseL29bsrmmnn_small_blockdim_kernelILj64ELj8ELj2EliaaiiEEv20rocsparse_direction_T3_S2_llNS_24const_host_device_scalarIT7_EEPKT2_PKS2_PKT4_PKT5_llS5_PT6_ll16rocsparse_order_21rocsparse_index_base_b,comdat
.Lfunc_end16:
	.size	_ZN9rocsparseL29bsrmmnn_small_blockdim_kernelILj64ELj8ELj2EliaaiiEEv20rocsparse_direction_T3_S2_llNS_24const_host_device_scalarIT7_EEPKT2_PKS2_PKT4_PKT5_llS5_PT6_ll16rocsparse_order_21rocsparse_index_base_b, .Lfunc_end16-_ZN9rocsparseL29bsrmmnn_small_blockdim_kernelILj64ELj8ELj2EliaaiiEEv20rocsparse_direction_T3_S2_llNS_24const_host_device_scalarIT7_EEPKT2_PKS2_PKT4_PKT5_llS5_PT6_ll16rocsparse_order_21rocsparse_index_base_b
                                        ; -- End function
	.section	.AMDGPU.csdata,"",@progbits
; Kernel info:
; codeLenInByte = 1824
; NumSgprs: 30
; NumVgprs: 47
; ScratchSize: 0
; MemoryBound: 0
; FloatMode: 240
; IeeeMode: 1
; LDSByteSize: 448 bytes/workgroup (compile time only)
; SGPRBlocks: 3
; VGPRBlocks: 5
; NumSGPRsForWavesPerEU: 30
; NumVGPRsForWavesPerEU: 47
; Occupancy: 16
; WaveLimiterHint : 0
; COMPUTE_PGM_RSRC2:SCRATCH_EN: 0
; COMPUTE_PGM_RSRC2:USER_SGPR: 14
; COMPUTE_PGM_RSRC2:TRAP_HANDLER: 0
; COMPUTE_PGM_RSRC2:TGID_X_EN: 1
; COMPUTE_PGM_RSRC2:TGID_Y_EN: 1
; COMPUTE_PGM_RSRC2:TGID_Z_EN: 0
; COMPUTE_PGM_RSRC2:TIDIG_COMP_CNT: 0
	.section	.text._ZN9rocsparseL29bsrmmnn_small_blockdim_kernelILj64ELj8ELj2EllaaiiEEv20rocsparse_direction_T3_S2_llNS_24const_host_device_scalarIT7_EEPKT2_PKS2_PKT4_PKT5_llS5_PT6_ll16rocsparse_order_21rocsparse_index_base_b,"axG",@progbits,_ZN9rocsparseL29bsrmmnn_small_blockdim_kernelILj64ELj8ELj2EllaaiiEEv20rocsparse_direction_T3_S2_llNS_24const_host_device_scalarIT7_EEPKT2_PKS2_PKT4_PKT5_llS5_PT6_ll16rocsparse_order_21rocsparse_index_base_b,comdat
	.globl	_ZN9rocsparseL29bsrmmnn_small_blockdim_kernelILj64ELj8ELj2EllaaiiEEv20rocsparse_direction_T3_S2_llNS_24const_host_device_scalarIT7_EEPKT2_PKS2_PKT4_PKT5_llS5_PT6_ll16rocsparse_order_21rocsparse_index_base_b ; -- Begin function _ZN9rocsparseL29bsrmmnn_small_blockdim_kernelILj64ELj8ELj2EllaaiiEEv20rocsparse_direction_T3_S2_llNS_24const_host_device_scalarIT7_EEPKT2_PKS2_PKT4_PKT5_llS5_PT6_ll16rocsparse_order_21rocsparse_index_base_b
	.p2align	8
	.type	_ZN9rocsparseL29bsrmmnn_small_blockdim_kernelILj64ELj8ELj2EllaaiiEEv20rocsparse_direction_T3_S2_llNS_24const_host_device_scalarIT7_EEPKT2_PKS2_PKT4_PKT5_llS5_PT6_ll16rocsparse_order_21rocsparse_index_base_b,@function
_ZN9rocsparseL29bsrmmnn_small_blockdim_kernelILj64ELj8ELj2EllaaiiEEv20rocsparse_direction_T3_S2_llNS_24const_host_device_scalarIT7_EEPKT2_PKS2_PKT4_PKT5_llS5_PT6_ll16rocsparse_order_21rocsparse_index_base_b: ; @_ZN9rocsparseL29bsrmmnn_small_blockdim_kernelILj64ELj8ELj2EllaaiiEEv20rocsparse_direction_T3_S2_llNS_24const_host_device_scalarIT7_EEPKT2_PKS2_PKT4_PKT5_llS5_PT6_ll16rocsparse_order_21rocsparse_index_base_b
; %bb.0:
	s_clause 0x1
	s_load_b128 s[20:23], s[0:1], 0x80
	s_load_b64 s[4:5], s[0:1], 0x28
	s_mov_b32 s7, -1
                                        ; implicit-def: $sgpr12
	s_waitcnt lgkmcnt(0)
	s_bitcmp1_b32 s22, 0
	s_cselect_b32 s2, -1, 0
	s_delay_alu instid0(SALU_CYCLE_1) | instskip(NEXT) | instid1(SALU_CYCLE_1)
	s_xor_b32 s6, s2, -1
	s_and_b32 vcc_lo, exec_lo, s6
	s_cbranch_vccnz .LBB17_4
; %bb.1:
	s_load_b64 s[2:3], s[0:1], 0x60
	s_and_not1_b32 vcc_lo, exec_lo, s7
	s_cbranch_vccz .LBB17_5
.LBB17_2:
	s_and_b32 vcc_lo, exec_lo, s6
	s_cbranch_vccz .LBB17_6
.LBB17_3:
	s_waitcnt lgkmcnt(0)
	s_load_b32 s3, s[2:3], 0x0
	s_cbranch_execz .LBB17_7
	s_branch .LBB17_8
.LBB17_4:
	s_load_b32 s12, s[4:5], 0x0
	s_load_b64 s[2:3], s[0:1], 0x60
	s_cbranch_execnz .LBB17_2
.LBB17_5:
	s_waitcnt lgkmcnt(0)
	s_mov_b32 s12, s4
	s_and_b32 vcc_lo, exec_lo, s6
	s_cbranch_vccnz .LBB17_3
.LBB17_6:
                                        ; implicit-def: $sgpr3
.LBB17_7:
	s_waitcnt lgkmcnt(0)
	s_mov_b32 s3, s2
.LBB17_8:
	s_waitcnt lgkmcnt(0)
	s_cmp_eq_u32 s12, 0
	s_cselect_b32 s2, -1, 0
	s_cmp_eq_u32 s3, 1
	s_cselect_b32 s4, -1, 0
	s_delay_alu instid0(SALU_CYCLE_1) | instskip(NEXT) | instid1(SALU_CYCLE_1)
	s_and_b32 s2, s2, s4
	s_and_b32 vcc_lo, exec_lo, s2
	s_cbranch_vccnz .LBB17_32
; %bb.9:
	s_clause 0x1
	s_load_b32 s13, s[0:1], 0x90
	s_load_b128 s[16:19], s[0:1], 0x8
	s_add_u32 s2, s0, 0x90
	s_addc_u32 s5, s1, 0
	v_mov_b32_e32 v5, 0
	s_waitcnt lgkmcnt(0)
	s_cmp_lt_u32 s14, s13
	s_cselect_b32 s4, 12, 18
	s_delay_alu instid0(SALU_CYCLE_1)
	s_add_u32 s4, s2, s4
	s_addc_u32 s5, s5, 0
	s_mov_b32 s2, 0
	global_load_u16 v3, v5, s[4:5]
	s_mov_b32 s4, exec_lo
	s_waitcnt vmcnt(0)
	v_mad_u64_u32 v[1:2], null, s14, v3, v[0:1]
	s_delay_alu instid0(VALU_DEP_1) | instskip(NEXT) | instid1(VALU_DEP_1)
	v_lshrrev_b32_e32 v4, 4, v1
	v_cmpx_gt_i64_e64 s[16:17], v[4:5]
	s_cbranch_execz .LBB17_32
; %bb.10:
	s_clause 0x2
	s_load_b128 s[24:27], s[0:1], 0x68
	s_load_b256 s[4:11], s[0:1], 0x30
	s_load_b64 s[22:23], s[0:1], 0x50
	v_lshrrev_b32_e32 v10, 3, v1
	v_dual_mov_b32 v2, v5 :: v_dual_and_b32 v17, 7, v1
	v_lshrrev_b32_e32 v0, 3, v0
	v_bfe_u32 v11, v1, 3, 1
	s_load_b32 s1, s[0:1], 0x0
	s_delay_alu instid0(VALU_DEP_3)
	v_lshl_or_b32 v1, s15, 3, v17
	v_mul_lo_u32 v3, s13, v3
	v_lshlrev_b32_e32 v18, 6, v0
	v_mul_u32_u24_e32 v15, 24, v0
	v_dual_mov_b32 v12, v5 :: v_dual_lshlrev_b32 v23, 2, v10
	v_cmp_gt_i64_e64 s0, s[18:19], v[1:2]
	s_cmp_lg_u32 s3, 0
	s_delay_alu instid0(VALU_DEP_3)
	v_or_b32_e32 v19, 0x200, v15
	v_lshlrev_b64 v[15:16], 2, v[1:2]
	v_lshrrev_b32_e32 v20, 4, v3
	s_waitcnt lgkmcnt(0)
	v_mad_u64_u32 v[8:9], null, v10, s26, 0
	v_mad_u64_u32 v[13:14], null, v1, s26, 0
	s_cselect_b32 s13, -1, 0
	s_cmp_lg_u32 s20, 1
	v_mad_u32_u24 v22, v17, 3, v19
	s_cselect_b32 s14, -1, 0
	s_delay_alu instid0(VALU_DEP_3) | instskip(SKIP_1) | instid1(VALU_DEP_1)
	v_mov_b32_e32 v0, v9
	s_cmp_eq_u32 s1, 0
	v_mad_u64_u32 v[6:7], null, v10, s27, v[0:1]
	v_mov_b32_e32 v0, v14
	s_delay_alu instid0(VALU_DEP_1) | instskip(NEXT) | instid1(VALU_DEP_3)
	v_mad_u64_u32 v[2:3], null, v1, s27, v[0:1]
	v_mov_b32_e32 v9, v6
	v_mad_u64_u32 v[6:7], null, v1, s22, s[10:11]
	v_add_co_u32 v3, vcc_lo, s24, v15
	s_delay_alu instid0(VALU_DEP_3)
	v_lshlrev_b64 v[8:9], 2, v[8:9]
	v_add_co_ci_u32_e32 v10, vcc_lo, s25, v16, vcc_lo
	v_mov_b32_e32 v14, v2
	v_mov_b32_e32 v0, v7
	v_sub_co_u32 v24, s10, v17, s21
	v_add_co_u32 v7, vcc_lo, v3, v8
	v_add_co_ci_u32_e32 v8, vcc_lo, v10, v9, vcc_lo
	v_add_co_u32 v9, s1, s24, v23
	s_delay_alu instid0(VALU_DEP_1)
	v_add_co_ci_u32_e64 v10, null, s25, 0, s1
	s_cselect_b32 s1, -1, 0
	v_lshlrev_b64 v[2:3], 2, v[13:14]
	v_mad_u64_u32 v[13:14], null, v1, s23, v[0:1]
	v_cndmask_b32_e64 v0, 0, 1, s1
	v_lshl_or_b32 v21, v17, 3, v18
	v_sub_co_ci_u32_e64 v25, null, 0, 0, s10
	v_add_co_u32 v9, vcc_lo, v9, v2
	v_mov_b32_e32 v23, v13
	v_lshlrev_b64 v[0:1], v0, v[11:12]
	v_add_co_ci_u32_e32 v10, vcc_lo, v10, v3, vcc_lo
	s_and_b32 s1, s1, exec_lo
	s_delay_alu instid0(VALU_DEP_2) | instskip(NEXT) | instid1(VALU_DEP_3)
	v_add_co_u32 v26, vcc_lo, s8, v0
	v_add_co_ci_u32_e32 v27, vcc_lo, s9, v1, vcc_lo
	s_mov_b32 s8, s21
	s_cselect_b32 s9, 1, 2
	s_branch .LBB17_12
.LBB17_11:                              ;   in Loop: Header=BB17_12 Depth=1
	s_or_b32 exec_lo, exec_lo, s1
	v_add_co_u32 v4, vcc_lo, v4, v20
	v_add_co_ci_u32_e32 v5, vcc_lo, 0, v5, vcc_lo
	s_delay_alu instid0(VALU_DEP_1) | instskip(SKIP_1) | instid1(SALU_CYCLE_1)
	v_cmp_le_i64_e32 vcc_lo, s[16:17], v[4:5]
	s_or_b32 s2, vcc_lo, s2
	s_and_not1_b32 exec_lo, exec_lo, s2
	s_cbranch_execz .LBB17_32
.LBB17_12:                              ; =>This Loop Header: Depth=1
                                        ;     Child Loop BB17_15 Depth 2
	v_lshlrev_b64 v[0:1], 3, v[4:5]
	v_mov_b32_e32 v28, 0
	s_mov_b32 s10, exec_lo
	s_delay_alu instid0(VALU_DEP_2) | instskip(NEXT) | instid1(VALU_DEP_3)
	v_add_co_u32 v0, vcc_lo, s4, v0
	v_add_co_ci_u32_e32 v1, vcc_lo, s5, v1, vcc_lo
	global_load_b128 v[0:3], v[0:1], off
	s_waitcnt vmcnt(0)
	v_cmpx_lt_i64_e64 v[0:1], v[2:3]
	s_cbranch_execz .LBB17_20
; %bb.13:                               ;   in Loop: Header=BB17_12 Depth=1
	v_add_co_u32 v11, vcc_lo, v24, v0
	v_add_co_ci_u32_e32 v12, vcc_lo, v25, v1, vcc_lo
	v_sub_co_u32 v2, vcc_lo, v2, s8
	v_subrev_co_ci_u32_e32 v3, vcc_lo, 0, v3, vcc_lo
	s_delay_alu instid0(VALU_DEP_3) | instskip(SKIP_3) | instid1(VALU_DEP_4)
	v_lshlrev_b64 v[13:14], 3, v[11:12]
	v_sub_co_u32 v0, vcc_lo, v0, s8
	v_lshlrev_b64 v[15:16], 2, v[11:12]
	v_subrev_co_ci_u32_e32 v1, vcc_lo, 0, v1, vcc_lo
	v_add_co_u32 v11, vcc_lo, s6, v13
	v_add_co_ci_u32_e32 v12, vcc_lo, s7, v14, vcc_lo
	s_delay_alu instid0(VALU_DEP_4)
	v_add_co_u32 v13, vcc_lo, v26, v15
	v_add_co_ci_u32_e32 v14, vcc_lo, v27, v16, vcc_lo
	v_mov_b32_e32 v28, 0
	s_mov_b32 s11, 0
	s_branch .LBB17_15
.LBB17_14:                              ;   in Loop: Header=BB17_15 Depth=2
	s_or_b32 exec_lo, exec_lo, s1
	v_add_co_u32 v0, vcc_lo, v0, 8
	v_add_co_ci_u32_e32 v1, vcc_lo, 0, v1, vcc_lo
	v_add_co_u32 v11, vcc_lo, v11, 64
	v_add_co_ci_u32_e32 v12, vcc_lo, 0, v12, vcc_lo
	s_delay_alu instid0(VALU_DEP_3) | instskip(SKIP_1) | instid1(VALU_DEP_1)
	v_cmp_ge_i64_e32 vcc_lo, v[0:1], v[2:3]
	v_add_co_u32 v13, s1, v13, 32
	v_add_co_ci_u32_e64 v14, s1, 0, v14, s1
	s_or_b32 s11, vcc_lo, s11
	s_delay_alu instid0(SALU_CYCLE_1)
	s_and_not1_b32 exec_lo, exec_lo, s11
	s_cbranch_execz .LBB17_19
.LBB17_15:                              ;   Parent Loop BB17_12 Depth=1
                                        ; =>  This Inner Loop Header: Depth=2
	v_add_co_u32 v29, vcc_lo, v17, v0
	v_add_co_ci_u32_e32 v30, vcc_lo, 0, v1, vcc_lo
	v_mov_b32_e32 v15, 0
	v_mov_b32_e32 v16, 0
	s_delay_alu instid0(VALU_DEP_3)
	v_cmp_lt_i64_e32 vcc_lo, v[29:30], v[2:3]
	v_dual_mov_b32 v29, 0 :: v_dual_mov_b32 v30, 0
	s_and_saveexec_b32 s1, vcc_lo
	s_cbranch_execz .LBB17_17
; %bb.16:                               ;   in Loop: Header=BB17_15 Depth=2
	global_load_b64 v[15:16], v[11:12], off
	v_add_co_u32 v30, vcc_lo, v13, s9
	v_add_co_ci_u32_e32 v31, vcc_lo, 0, v14, vcc_lo
	s_clause 0x1
	global_load_u8 v29, v[13:14], off
	global_load_u8 v30, v[30:31], off
	s_waitcnt vmcnt(2)
	v_sub_co_u32 v15, vcc_lo, v15, s8
	v_subrev_co_ci_u32_e32 v16, vcc_lo, 0, v16, vcc_lo
	s_delay_alu instid0(VALU_DEP_1)
	v_lshlrev_b64 v[15:16], 1, v[15:16]
.LBB17_17:                              ;   in Loop: Header=BB17_15 Depth=2
	s_or_b32 exec_lo, exec_lo, s1
	ds_store_b64 v21, v[15:16]
	s_waitcnt vmcnt(1)
	ds_store_b8 v22, v29
	s_waitcnt vmcnt(0)
	ds_store_b8 v22, v30 offset:1
	s_waitcnt lgkmcnt(0)
	s_waitcnt_vscnt null, 0x0
	s_barrier
	buffer_gl0_inv
	s_and_saveexec_b32 s1, s0
	s_cbranch_execz .LBB17_14
; %bb.18:                               ;   in Loop: Header=BB17_15 Depth=2
	ds_load_b128 v[29:32], v18
	ds_load_b128 v[33:36], v18 offset:16
	ds_load_b128 v[37:40], v18 offset:32
	;; [unrolled: 1-line block ×3, first 2 shown]
	s_waitcnt lgkmcnt(3)
	v_add_co_u32 v15, vcc_lo, v6, v29
	v_add_co_ci_u32_e32 v16, vcc_lo, v23, v30, vcc_lo
	v_add_co_u32 v29, vcc_lo, v6, v31
	v_add_co_ci_u32_e32 v30, vcc_lo, v23, v32, vcc_lo
	s_waitcnt lgkmcnt(2)
	v_add_co_u32 v31, vcc_lo, v6, v33
	v_add_co_ci_u32_e32 v32, vcc_lo, v23, v34, vcc_lo
	v_add_co_u32 v33, vcc_lo, v6, v35
	v_add_co_ci_u32_e32 v34, vcc_lo, v23, v36, vcc_lo
	s_clause 0x3
	global_load_u16 v35, v[15:16], off
	global_load_u16 v36, v[29:30], off
	;; [unrolled: 1-line block ×4, first 2 shown]
	s_waitcnt lgkmcnt(1)
	v_add_co_u32 v15, vcc_lo, v6, v37
	v_add_co_ci_u32_e32 v16, vcc_lo, v23, v38, vcc_lo
	v_add_co_u32 v29, vcc_lo, v6, v39
	v_add_co_ci_u32_e32 v30, vcc_lo, v23, v40, vcc_lo
	s_waitcnt lgkmcnt(0)
	v_add_co_u32 v31, vcc_lo, v6, v41
	v_add_co_ci_u32_e32 v32, vcc_lo, v23, v42, vcc_lo
	v_add_co_u32 v33, vcc_lo, v6, v43
	v_add_co_ci_u32_e32 v34, vcc_lo, v23, v44, vcc_lo
	s_clause 0x3
	global_load_u16 v15, v[15:16], off
	global_load_u16 v16, v[29:30], off
	;; [unrolled: 1-line block ×4, first 2 shown]
	ds_load_u16 v31, v19
	ds_load_i8 v32, v19 offset:3
	ds_load_i8 v33, v19 offset:4
	ds_load_u16 v34, v19 offset:6
	ds_load_i8 v37, v19 offset:9
	ds_load_i8 v38, v19 offset:10
	ds_load_u16 v39, v19 offset:12
	;; [unrolled: 3-line block ×3, first 2 shown]
	ds_load_i8 v43, v19 offset:21
	ds_load_i8 v44, v19 offset:22
	s_waitcnt lgkmcnt(11)
	v_perm_b32 v31, v31, v31, 0xc0c0100
	s_waitcnt lgkmcnt(9)
	v_perm_b32 v32, v33, v32, 0x4000c0c
	;; [unrolled: 2-line block ×4, first 2 shown]
	v_or_b32_e32 v31, v32, v31
	s_delay_alu instid0(VALU_DEP_2)
	v_or_b32_e32 v33, v34, v33
	s_waitcnt vmcnt(6)
	v_perm_b32 v32, v36, v35, 0x5040100
	s_waitcnt lgkmcnt(5)
	v_perm_b32 v35, v39, v39, 0xc0c0100
	s_waitcnt lgkmcnt(3)
	v_perm_b32 v36, v41, v40, 0x4000c0c
	s_waitcnt vmcnt(4)
	v_perm_b32 v34, v46, v45, 0x5040100
	v_dot4_i32_iu8 v28, v32, v31, v28 neg_lo:[1,1,0]
	s_waitcnt lgkmcnt(2)
	v_perm_b32 v31, v42, v42, 0xc0c0100
	v_or_b32_e32 v32, v36, v35
	s_waitcnt vmcnt(2)
	v_perm_b32 v15, v16, v15, 0x5040100
	v_dot4_i32_iu8 v16, v34, v33, v28 neg_lo:[1,1,0]
	s_waitcnt lgkmcnt(0)
	v_perm_b32 v28, v44, v43, 0x4000c0c
	s_waitcnt vmcnt(0)
	v_perm_b32 v29, v30, v29, 0x5040100
	v_dot4_i32_iu8 v15, v15, v32, v16 neg_lo:[1,1,0]
	s_delay_alu instid0(VALU_DEP_3) | instskip(NEXT) | instid1(VALU_DEP_1)
	v_or_b32_e32 v16, v28, v31
	v_dot4_i32_iu8 v28, v29, v16, v15 neg_lo:[1,1,0]
	s_branch .LBB17_14
.LBB17_19:                              ;   in Loop: Header=BB17_12 Depth=1
	s_or_b32 exec_lo, exec_lo, s11
.LBB17_20:                              ;   in Loop: Header=BB17_12 Depth=1
	s_delay_alu instid0(SALU_CYCLE_1)
	s_or_b32 exec_lo, exec_lo, s10
	s_and_saveexec_b32 s1, s0
	s_cbranch_execz .LBB17_11
; %bb.21:                               ;   in Loop: Header=BB17_12 Depth=1
	v_mul_lo_u32 v0, v28, s12
	s_and_b32 vcc_lo, exec_lo, s13
	s_cbranch_vccz .LBB17_27
; %bb.22:                               ;   in Loop: Header=BB17_12 Depth=1
	s_and_b32 vcc_lo, exec_lo, s14
	s_mov_b32 s10, -1
	s_cbranch_vccz .LBB17_24
; %bb.23:                               ;   in Loop: Header=BB17_12 Depth=1
	global_load_b32 v3, v[7:8], off
	s_mov_b32 s10, 0
	s_waitcnt vmcnt(0)
	v_mad_u64_u32 v[1:2], null, v3, s3, v[0:1]
	global_store_b32 v[7:8], v1, off
.LBB17_24:                              ;   in Loop: Header=BB17_12 Depth=1
	s_and_not1_b32 vcc_lo, exec_lo, s10
	s_cbranch_vccnz .LBB17_26
; %bb.25:                               ;   in Loop: Header=BB17_12 Depth=1
	global_load_b32 v3, v[9:10], off
	s_waitcnt vmcnt(0)
	v_mad_u64_u32 v[1:2], null, v3, s3, v[0:1]
	global_store_b32 v[9:10], v1, off
.LBB17_26:                              ;   in Loop: Header=BB17_12 Depth=1
	s_cbranch_execnz .LBB17_11
	s_branch .LBB17_28
.LBB17_27:                              ;   in Loop: Header=BB17_12 Depth=1
.LBB17_28:                              ;   in Loop: Header=BB17_12 Depth=1
	s_and_b32 vcc_lo, exec_lo, s14
	s_mov_b32 s10, -1
	s_cbranch_vccz .LBB17_30
; %bb.29:                               ;   in Loop: Header=BB17_12 Depth=1
	s_mov_b32 s10, 0
	global_store_b32 v[7:8], v0, off
.LBB17_30:                              ;   in Loop: Header=BB17_12 Depth=1
	s_and_not1_b32 vcc_lo, exec_lo, s10
	s_cbranch_vccnz .LBB17_11
; %bb.31:                               ;   in Loop: Header=BB17_12 Depth=1
	global_store_b32 v[9:10], v0, off
	s_branch .LBB17_11
.LBB17_32:
	s_nop 0
	s_sendmsg sendmsg(MSG_DEALLOC_VGPRS)
	s_endpgm
	.section	.rodata,"a",@progbits
	.p2align	6, 0x0
	.amdhsa_kernel _ZN9rocsparseL29bsrmmnn_small_blockdim_kernelILj64ELj8ELj2EllaaiiEEv20rocsparse_direction_T3_S2_llNS_24const_host_device_scalarIT7_EEPKT2_PKS2_PKT4_PKT5_llS5_PT6_ll16rocsparse_order_21rocsparse_index_base_b
		.amdhsa_group_segment_fixed_size 704
		.amdhsa_private_segment_fixed_size 0
		.amdhsa_kernarg_size 400
		.amdhsa_user_sgpr_count 14
		.amdhsa_user_sgpr_dispatch_ptr 0
		.amdhsa_user_sgpr_queue_ptr 0
		.amdhsa_user_sgpr_kernarg_segment_ptr 1
		.amdhsa_user_sgpr_dispatch_id 0
		.amdhsa_user_sgpr_private_segment_size 0
		.amdhsa_wavefront_size32 1
		.amdhsa_uses_dynamic_stack 0
		.amdhsa_enable_private_segment 0
		.amdhsa_system_sgpr_workgroup_id_x 1
		.amdhsa_system_sgpr_workgroup_id_y 1
		.amdhsa_system_sgpr_workgroup_id_z 0
		.amdhsa_system_sgpr_workgroup_info 0
		.amdhsa_system_vgpr_workitem_id 0
		.amdhsa_next_free_vgpr 47
		.amdhsa_next_free_sgpr 28
		.amdhsa_reserve_vcc 1
		.amdhsa_float_round_mode_32 0
		.amdhsa_float_round_mode_16_64 0
		.amdhsa_float_denorm_mode_32 3
		.amdhsa_float_denorm_mode_16_64 3
		.amdhsa_dx10_clamp 1
		.amdhsa_ieee_mode 1
		.amdhsa_fp16_overflow 0
		.amdhsa_workgroup_processor_mode 1
		.amdhsa_memory_ordered 1
		.amdhsa_forward_progress 0
		.amdhsa_shared_vgpr_count 0
		.amdhsa_exception_fp_ieee_invalid_op 0
		.amdhsa_exception_fp_denorm_src 0
		.amdhsa_exception_fp_ieee_div_zero 0
		.amdhsa_exception_fp_ieee_overflow 0
		.amdhsa_exception_fp_ieee_underflow 0
		.amdhsa_exception_fp_ieee_inexact 0
		.amdhsa_exception_int_div_zero 0
	.end_amdhsa_kernel
	.section	.text._ZN9rocsparseL29bsrmmnn_small_blockdim_kernelILj64ELj8ELj2EllaaiiEEv20rocsparse_direction_T3_S2_llNS_24const_host_device_scalarIT7_EEPKT2_PKS2_PKT4_PKT5_llS5_PT6_ll16rocsparse_order_21rocsparse_index_base_b,"axG",@progbits,_ZN9rocsparseL29bsrmmnn_small_blockdim_kernelILj64ELj8ELj2EllaaiiEEv20rocsparse_direction_T3_S2_llNS_24const_host_device_scalarIT7_EEPKT2_PKS2_PKT4_PKT5_llS5_PT6_ll16rocsparse_order_21rocsparse_index_base_b,comdat
.Lfunc_end17:
	.size	_ZN9rocsparseL29bsrmmnn_small_blockdim_kernelILj64ELj8ELj2EllaaiiEEv20rocsparse_direction_T3_S2_llNS_24const_host_device_scalarIT7_EEPKT2_PKS2_PKT4_PKT5_llS5_PT6_ll16rocsparse_order_21rocsparse_index_base_b, .Lfunc_end17-_ZN9rocsparseL29bsrmmnn_small_blockdim_kernelILj64ELj8ELj2EllaaiiEEv20rocsparse_direction_T3_S2_llNS_24const_host_device_scalarIT7_EEPKT2_PKS2_PKT4_PKT5_llS5_PT6_ll16rocsparse_order_21rocsparse_index_base_b
                                        ; -- End function
	.section	.AMDGPU.csdata,"",@progbits
; Kernel info:
; codeLenInByte = 1852
; NumSgprs: 30
; NumVgprs: 47
; ScratchSize: 0
; MemoryBound: 0
; FloatMode: 240
; IeeeMode: 1
; LDSByteSize: 704 bytes/workgroup (compile time only)
; SGPRBlocks: 3
; VGPRBlocks: 5
; NumSGPRsForWavesPerEU: 30
; NumVGPRsForWavesPerEU: 47
; Occupancy: 16
; WaveLimiterHint : 1
; COMPUTE_PGM_RSRC2:SCRATCH_EN: 0
; COMPUTE_PGM_RSRC2:USER_SGPR: 14
; COMPUTE_PGM_RSRC2:TRAP_HANDLER: 0
; COMPUTE_PGM_RSRC2:TGID_X_EN: 1
; COMPUTE_PGM_RSRC2:TGID_Y_EN: 1
; COMPUTE_PGM_RSRC2:TGID_Z_EN: 0
; COMPUTE_PGM_RSRC2:TIDIG_COMP_CNT: 0
	.section	.text._ZN9rocsparseL29bsrmmnn_small_blockdim_kernelILj64ELj8ELj2EiiaaffEEv20rocsparse_direction_T3_S2_llNS_24const_host_device_scalarIT7_EEPKT2_PKS2_PKT4_PKT5_llS5_PT6_ll16rocsparse_order_21rocsparse_index_base_b,"axG",@progbits,_ZN9rocsparseL29bsrmmnn_small_blockdim_kernelILj64ELj8ELj2EiiaaffEEv20rocsparse_direction_T3_S2_llNS_24const_host_device_scalarIT7_EEPKT2_PKS2_PKT4_PKT5_llS5_PT6_ll16rocsparse_order_21rocsparse_index_base_b,comdat
	.globl	_ZN9rocsparseL29bsrmmnn_small_blockdim_kernelILj64ELj8ELj2EiiaaffEEv20rocsparse_direction_T3_S2_llNS_24const_host_device_scalarIT7_EEPKT2_PKS2_PKT4_PKT5_llS5_PT6_ll16rocsparse_order_21rocsparse_index_base_b ; -- Begin function _ZN9rocsparseL29bsrmmnn_small_blockdim_kernelILj64ELj8ELj2EiiaaffEEv20rocsparse_direction_T3_S2_llNS_24const_host_device_scalarIT7_EEPKT2_PKS2_PKT4_PKT5_llS5_PT6_ll16rocsparse_order_21rocsparse_index_base_b
	.p2align	8
	.type	_ZN9rocsparseL29bsrmmnn_small_blockdim_kernelILj64ELj8ELj2EiiaaffEEv20rocsparse_direction_T3_S2_llNS_24const_host_device_scalarIT7_EEPKT2_PKS2_PKT4_PKT5_llS5_PT6_ll16rocsparse_order_21rocsparse_index_base_b,@function
_ZN9rocsparseL29bsrmmnn_small_blockdim_kernelILj64ELj8ELj2EiiaaffEEv20rocsparse_direction_T3_S2_llNS_24const_host_device_scalarIT7_EEPKT2_PKS2_PKT4_PKT5_llS5_PT6_ll16rocsparse_order_21rocsparse_index_base_b: ; @_ZN9rocsparseL29bsrmmnn_small_blockdim_kernelILj64ELj8ELj2EiiaaffEEv20rocsparse_direction_T3_S2_llNS_24const_host_device_scalarIT7_EEPKT2_PKS2_PKT4_PKT5_llS5_PT6_ll16rocsparse_order_21rocsparse_index_base_b
; %bb.0:
	s_clause 0x2
	s_load_b128 s[16:19], s[0:1], 0x78
	s_load_b64 s[2:3], s[0:1], 0x20
	s_load_b64 s[12:13], s[0:1], 0x58
	s_waitcnt lgkmcnt(0)
	s_bitcmp1_b32 s18, 0
	s_cselect_b32 s4, -1, 0
	s_delay_alu instid0(SALU_CYCLE_1)
	s_and_b32 vcc_lo, exec_lo, s4
	s_xor_b32 s4, s4, -1
	s_cbranch_vccnz .LBB18_2
; %bb.1:
	s_load_b32 s2, s[2:3], 0x0
.LBB18_2:
	s_and_not1_b32 vcc_lo, exec_lo, s4
	s_cbranch_vccnz .LBB18_4
; %bb.3:
	s_load_b32 s12, s[12:13], 0x0
.LBB18_4:
	s_waitcnt lgkmcnt(0)
	v_cmp_eq_f32_e64 s3, s2, 0
	v_cmp_eq_f32_e64 s4, s12, 1.0
	s_delay_alu instid0(VALU_DEP_1) | instskip(NEXT) | instid1(SALU_CYCLE_1)
	s_and_b32 s3, s3, s4
	s_and_b32 vcc_lo, exec_lo, s3
	s_cbranch_vccnz .LBB18_28
; %bb.5:
	s_clause 0x1
	s_load_b32 s3, s[0:1], 0x88
	s_load_b128 s[20:23], s[0:1], 0x0
	s_add_u32 s4, s0, 0x88
	s_addc_u32 s5, s1, 0
	v_mov_b32_e32 v2, 0
	s_waitcnt lgkmcnt(0)
	s_cmp_lt_u32 s14, s3
	s_cselect_b32 s6, 12, 18
	s_delay_alu instid0(SALU_CYCLE_1)
	s_add_u32 s4, s4, s6
	s_addc_u32 s5, s5, 0
	global_load_u16 v5, v2, s[4:5]
	s_mov_b32 s4, exec_lo
	s_waitcnt vmcnt(0)
	v_mad_u64_u32 v[3:4], null, s14, v5, v[0:1]
	s_delay_alu instid0(VALU_DEP_1) | instskip(NEXT) | instid1(VALU_DEP_1)
	v_lshrrev_b32_e32 v1, 4, v3
	v_cmpx_gt_i32_e64 s21, v1
	s_cbranch_execz .LBB18_28
; %bb.6:
	s_clause 0x1
	s_load_b128 s[24:27], s[0:1], 0x60
	s_load_b256 s[4:11], s[0:1], 0x28
	v_and_b32_e32 v11, 7, v3
	v_mul_lo_u32 v4, s3, v5
	v_lshrrev_b32_e32 v15, 3, v3
	s_load_b64 s[18:19], s[0:1], 0x48
	v_bfe_u32 v20, v3, 3, 1
	v_lshl_or_b32 v5, s15, 3, v11
	v_lshrrev_b32_e32 v3, 3, v0
	s_cmp_lg_u32 s16, 1
	v_lshlrev_b32_e32 v21, 2, v15
	v_lshrrev_b32_e32 v12, 4, v4
	v_ashrrev_i32_e32 v6, 31, v5
	v_mul_u32_u24_e32 v14, 24, v3
	v_cmp_gt_i32_e64 s0, s22, v5
	s_cselect_b32 s3, -1, 0
	s_cmp_eq_u32 s20, 0
	v_lshlrev_b64 v[16:17], 2, v[5:6]
	v_or_b32_e32 v14, 0x100, v14
	v_cmp_neq_f32_e64 s1, s12, 0
	s_waitcnt lgkmcnt(0)
	v_mad_u64_u32 v[7:8], null, v15, s26, 0
	v_mul_lo_u32 v4, v6, s26
	v_lshlrev_b32_e32 v0, 5, v3
	v_mul_lo_u32 v22, v5, s27
	v_mad_u64_u32 v[9:10], null, v5, s26, 0
	v_mov_b32_e32 v3, v8
	s_delay_alu instid0(VALU_DEP_2) | instskip(NEXT) | instid1(VALU_DEP_2)
	v_add3_u32 v10, v10, v22, v4
	v_mad_u64_u32 v[18:19], null, v15, s27, v[3:4]
	v_mul_lo_u32 v19, v6, s18
	v_mul_lo_u32 v22, v5, s19
	v_mad_u64_u32 v[3:4], null, v5, s18, s[10:11]
	v_lshlrev_b64 v[5:6], 2, v[9:10]
	v_add_co_u32 v9, vcc_lo, s24, v16
	v_mov_b32_e32 v8, v18
	v_add_co_ci_u32_e32 v10, vcc_lo, s25, v17, vcc_lo
	s_delay_alu instid0(VALU_DEP_4) | instskip(NEXT) | instid1(VALU_DEP_3)
	v_add_co_u32 v16, vcc_lo, s24, v5
	v_lshlrev_b64 v[7:8], 2, v[7:8]
	s_cselect_b32 s11, -1, 0
	v_add_co_ci_u32_e32 v17, vcc_lo, s25, v6, vcc_lo
	v_lshl_or_b32 v13, v11, 2, v0
	v_mad_u32_u24 v15, v11, 3, v14
	s_delay_alu instid0(VALU_DEP_4)
	v_add_co_u32 v5, vcc_lo, v9, v7
	v_cndmask_b32_e64 v9, 0, 1, s11
	v_add_co_ci_u32_e32 v6, vcc_lo, v10, v8, vcc_lo
	v_add_co_u32 v7, vcc_lo, v16, v21
	v_add3_u32 v4, v19, v4, v22
	v_add_co_ci_u32_e32 v8, vcc_lo, 0, v17, vcc_lo
	v_lshlrev_b32_e32 v16, v9, v20
	v_subrev_nc_u32_e32 v17, s17, v11
	s_and_b32 s11, s11, exec_lo
	s_mov_b32 s10, 0
	s_cselect_b32 s11, 1, 2
	s_branch .LBB18_8
.LBB18_7:                               ;   in Loop: Header=BB18_8 Depth=1
	s_or_b32 exec_lo, exec_lo, s13
	v_add_nc_u32_e32 v1, v1, v12
	s_delay_alu instid0(VALU_DEP_1) | instskip(SKIP_1) | instid1(SALU_CYCLE_1)
	v_cmp_le_i32_e32 vcc_lo, s21, v1
	s_or_b32 s10, vcc_lo, s10
	s_and_not1_b32 exec_lo, exec_lo, s10
	s_cbranch_execz .LBB18_28
.LBB18_8:                               ; =>This Loop Header: Depth=1
                                        ;     Child Loop BB18_11 Depth 2
	v_lshlrev_b64 v[9:10], 2, v[1:2]
	v_mov_b32_e32 v18, 0
	s_mov_b32 s13, exec_lo
	s_delay_alu instid0(VALU_DEP_2) | instskip(NEXT) | instid1(VALU_DEP_3)
	v_add_co_u32 v9, vcc_lo, s4, v9
	v_add_co_ci_u32_e32 v10, vcc_lo, s5, v10, vcc_lo
	global_load_b64 v[9:10], v[9:10], off
	s_waitcnt vmcnt(0)
	v_cmpx_lt_i32_e64 v9, v10
	s_cbranch_execz .LBB18_16
; %bb.9:                                ;   in Loop: Header=BB18_8 Depth=1
	v_add_nc_u32_e32 v18, v17, v9
	v_subrev_nc_u32_e32 v19, s17, v10
	v_subrev_nc_u32_e32 v20, s17, v9
	s_mov_b32 s14, 0
	s_delay_alu instid0(VALU_DEP_3)
	v_lshl_or_b32 v21, v18, 2, v16
	v_mov_b32_e32 v18, 0
	s_branch .LBB18_11
.LBB18_10:                              ;   in Loop: Header=BB18_11 Depth=2
	s_or_b32 exec_lo, exec_lo, s15
	v_add_nc_u32_e32 v20, 8, v20
	v_add_nc_u32_e32 v21, 32, v21
	s_delay_alu instid0(VALU_DEP_2) | instskip(SKIP_1) | instid1(SALU_CYCLE_1)
	v_cmp_ge_i32_e32 vcc_lo, v20, v19
	s_or_b32 s14, vcc_lo, s14
	s_and_not1_b32 exec_lo, exec_lo, s14
	s_cbranch_execz .LBB18_15
.LBB18_11:                              ;   Parent Loop BB18_8 Depth=1
                                        ; =>  This Inner Loop Header: Depth=2
	v_dual_mov_b32 v22, 0 :: v_dual_add_nc_u32 v9, v11, v20
	v_dual_mov_b32 v10, 0 :: v_dual_mov_b32 v23, 0
	s_mov_b32 s15, exec_lo
	s_delay_alu instid0(VALU_DEP_2)
	v_cmpx_lt_i32_e64 v9, v19
	s_cbranch_execz .LBB18_13
; %bb.12:                               ;   in Loop: Header=BB18_11 Depth=2
	v_ashrrev_i32_e32 v10, 31, v9
	s_delay_alu instid0(VALU_DEP_1) | instskip(NEXT) | instid1(VALU_DEP_1)
	v_lshlrev_b64 v[9:10], 2, v[9:10]
	v_add_co_u32 v9, vcc_lo, s6, v9
	s_delay_alu instid0(VALU_DEP_2)
	v_add_co_ci_u32_e32 v10, vcc_lo, s7, v10, vcc_lo
	global_load_b32 v9, v[9:10], off
	v_add_nc_u32_e32 v10, s11, v21
	s_clause 0x1
	global_load_i8 v23, v10, s[8:9]
	global_load_u8 v10, v21, s[8:9]
	s_waitcnt vmcnt(2)
	v_subrev_nc_u32_e32 v9, s17, v9
	s_waitcnt vmcnt(1)
	v_cvt_f32_i32_e32 v23, v23
	s_delay_alu instid0(VALU_DEP_2)
	v_lshlrev_b32_e32 v22, 1, v9
.LBB18_13:                              ;   in Loop: Header=BB18_11 Depth=2
	s_or_b32 exec_lo, exec_lo, s15
	s_delay_alu instid0(VALU_DEP_2)
	v_cvt_i32_f32_e32 v9, v23
	ds_store_b32 v13, v22
	s_waitcnt vmcnt(0)
	ds_store_b8 v15, v10
	ds_store_b8 v15, v9 offset:1
	s_waitcnt lgkmcnt(0)
	s_waitcnt_vscnt null, 0x0
	s_barrier
	buffer_gl0_inv
	s_and_saveexec_b32 s15, s0
	s_cbranch_execz .LBB18_10
; %bb.14:                               ;   in Loop: Header=BB18_11 Depth=2
	ds_load_b128 v[22:25], v0
	ds_load_b128 v[26:29], v0 offset:16
	s_waitcnt lgkmcnt(1)
	v_ashrrev_i32_e32 v10, 31, v22
	v_add_co_u32 v9, vcc_lo, v3, v22
	v_ashrrev_i32_e32 v22, 31, v23
	s_delay_alu instid0(VALU_DEP_3)
	v_add_co_ci_u32_e32 v10, vcc_lo, v4, v10, vcc_lo
	global_load_u16 v30, v[9:10], off
	v_add_co_u32 v9, vcc_lo, v3, v23
	v_add_co_ci_u32_e32 v10, vcc_lo, v4, v22, vcc_lo
	v_ashrrev_i32_e32 v22, 31, v24
	global_load_u16 v23, v[9:10], off
	v_add_co_u32 v9, vcc_lo, v3, v24
	v_add_co_ci_u32_e32 v10, vcc_lo, v4, v22, vcc_lo
	v_ashrrev_i32_e32 v22, 31, v25
	global_load_u16 v24, v[9:10], off
	v_add_co_u32 v9, vcc_lo, v3, v25
	v_add_co_ci_u32_e32 v10, vcc_lo, v4, v22, vcc_lo
	s_waitcnt lgkmcnt(0)
	v_ashrrev_i32_e32 v22, 31, v26
	global_load_u16 v25, v[9:10], off
	v_add_co_u32 v9, vcc_lo, v3, v26
	v_add_co_ci_u32_e32 v10, vcc_lo, v4, v22, vcc_lo
	v_ashrrev_i32_e32 v22, 31, v27
	global_load_u16 v26, v[9:10], off
	v_add_co_u32 v9, vcc_lo, v3, v27
	v_add_co_ci_u32_e32 v10, vcc_lo, v4, v22, vcc_lo
	;; [unrolled: 4-line block ×4, first 2 shown]
	global_load_u16 v9, v[9:10], off
	ds_load_u16 v10, v14
	ds_load_i8 v22, v14 offset:3
	ds_load_i8 v29, v14 offset:4
	ds_load_u16 v31, v14 offset:6
	ds_load_i8 v32, v14 offset:9
	ds_load_i8 v33, v14 offset:10
	ds_load_u16 v34, v14 offset:12
	;; [unrolled: 3-line block ×3, first 2 shown]
	ds_load_i8 v38, v14 offset:21
	ds_load_i8 v39, v14 offset:22
	s_waitcnt lgkmcnt(11)
	v_bfe_i32 v40, v10, 0, 8
	v_ashrrev_i16 v10, 8, v10
	s_waitcnt lgkmcnt(10)
	v_cvt_f32_i32_e32 v22, v22
	s_waitcnt lgkmcnt(8)
	v_bfe_i32 v41, v31, 0, 8
	v_cvt_f32_i32_e32 v29, v29
	v_bfe_i32 v40, v40, 0, 16
	v_bfe_i32 v10, v10, 0, 16
	v_ashrrev_i16 v31, 8, v31
	s_waitcnt lgkmcnt(7)
	v_cvt_f32_i32_e32 v32, v32
	s_waitcnt lgkmcnt(5)
	v_bfe_i32 v42, v34, 0, 8
	v_cvt_f32_i32_e32 v40, v40
	v_cvt_f32_i32_e32 v10, v10
	;; [unrolled: 1-line block ×3, first 2 shown]
	v_ashrrev_i16 v34, 8, v34
	s_waitcnt lgkmcnt(4)
	v_cvt_f32_i32_e32 v35, v35
	s_waitcnt lgkmcnt(2)
	v_bfe_i32 v44, v37, 0, 8
	v_cvt_f32_i32_e32 v36, v36
	v_ashrrev_i16 v37, 8, v37
	s_waitcnt vmcnt(7)
	v_bfe_i32 v43, v30, 0, 8
	v_ashrrev_i16 v30, 8, v30
	s_delay_alu instid0(VALU_DEP_2) | instskip(NEXT) | instid1(VALU_DEP_2)
	v_bfe_i32 v43, v43, 0, 16
	v_bfe_i32 v30, v30, 0, 16
	s_waitcnt vmcnt(6)
	v_bfe_i32 v45, v23, 0, 8
	v_ashrrev_i16 v23, 8, v23
	v_cvt_f32_i32_e32 v43, v43
	v_cvt_f32_i32_e32 v30, v30
	s_delay_alu instid0(VALU_DEP_4) | instskip(NEXT) | instid1(VALU_DEP_4)
	v_bfe_i32 v45, v45, 0, 16
	v_bfe_i32 v23, v23, 0, 16
	s_delay_alu instid0(VALU_DEP_4)
	v_fmac_f32_e32 v18, v40, v43
	v_bfe_i32 v40, v41, 0, 16
	s_waitcnt vmcnt(5)
	v_bfe_i32 v41, v24, 0, 8
	v_cvt_f32_i32_e32 v43, v45
	v_ashrrev_i16 v24, 8, v24
	v_fmac_f32_e32 v18, v10, v30
	v_cvt_f32_i32_e32 v23, v23
	v_bfe_i32 v30, v41, 0, 16
	v_bfe_i32 v10, v31, 0, 16
	s_waitcnt vmcnt(4)
	v_bfe_i32 v31, v25, 0, 8
	v_fmac_f32_e32 v18, v22, v43
	v_cvt_f32_i32_e32 v22, v40
	v_bfe_i32 v24, v24, 0, 16
	v_cvt_f32_i32_e32 v30, v30
	v_cvt_f32_i32_e32 v10, v10
	v_fmac_f32_e32 v18, v29, v23
	v_ashrrev_i16 v23, 8, v25
	v_bfe_i32 v25, v31, 0, 16
	v_cvt_f32_i32_e32 v24, v24
	s_waitcnt vmcnt(3)
	v_bfe_i32 v29, v26, 0, 8
	v_fmac_f32_e32 v18, v22, v30
	v_bfe_i32 v23, v23, 0, 16
	v_cvt_f32_i32_e32 v25, v25
	v_bfe_i32 v22, v42, 0, 16
	s_delay_alu instid0(VALU_DEP_4)
	v_fmac_f32_e32 v18, v10, v24
	v_ashrrev_i16 v24, 8, v26
	v_bfe_i32 v26, v29, 0, 16
	v_cvt_f32_i32_e32 v23, v23
	v_bfe_i32 v10, v34, 0, 16
	v_fmac_f32_e32 v18, v32, v25
	v_cvt_f32_i32_e32 v22, v22
	s_waitcnt vmcnt(2)
	v_bfe_i32 v25, v27, 0, 8
	v_bfe_i32 v24, v24, 0, 16
	v_cvt_f32_i32_e32 v26, v26
	v_fmac_f32_e32 v18, v33, v23
	v_cvt_f32_i32_e32 v10, v10
	v_ashrrev_i16 v23, 8, v27
	v_bfe_i32 v25, v25, 0, 16
	v_cvt_f32_i32_e32 v24, v24
	v_fmac_f32_e32 v18, v22, v26
	s_waitcnt vmcnt(1)
	v_bfe_i32 v26, v28, 0, 8
	v_bfe_i32 v23, v23, 0, 16
	v_cvt_f32_i32_e32 v25, v25
	v_bfe_i32 v22, v44, 0, 16
	v_fmac_f32_e32 v18, v10, v24
	v_ashrrev_i16 v24, 8, v28
	v_bfe_i32 v26, v26, 0, 16
	v_cvt_f32_i32_e32 v23, v23
	v_bfe_i32 v10, v37, 0, 16
	v_fmac_f32_e32 v18, v35, v25
	v_cvt_f32_i32_e32 v22, v22
	s_waitcnt vmcnt(0)
	v_bfe_i32 v25, v9, 0, 8
	v_bfe_i32 v24, v24, 0, 16
	v_cvt_f32_i32_e32 v26, v26
	v_fmac_f32_e32 v18, v36, v23
	v_cvt_f32_i32_e32 v10, v10
	v_bfe_i32 v23, v25, 0, 16
	v_cvt_f32_i32_e32 v24, v24
	v_ashrrev_i16 v9, 8, v9
	v_fmac_f32_e32 v18, v22, v26
	s_waitcnt lgkmcnt(1)
	v_cvt_f32_i32_e32 v22, v38
	v_cvt_f32_i32_e32 v23, v23
	v_bfe_i32 v9, v9, 0, 16
	v_fmac_f32_e32 v18, v10, v24
	s_waitcnt lgkmcnt(0)
	v_cvt_f32_i32_e32 v10, v39
	s_delay_alu instid0(VALU_DEP_3) | instskip(NEXT) | instid1(VALU_DEP_3)
	v_cvt_f32_i32_e32 v9, v9
	v_fmac_f32_e32 v18, v22, v23
	s_delay_alu instid0(VALU_DEP_1)
	v_fmac_f32_e32 v18, v10, v9
	s_branch .LBB18_10
.LBB18_15:                              ;   in Loop: Header=BB18_8 Depth=1
	s_or_b32 exec_lo, exec_lo, s14
.LBB18_16:                              ;   in Loop: Header=BB18_8 Depth=1
	s_delay_alu instid0(SALU_CYCLE_1)
	s_or_b32 exec_lo, exec_lo, s13
	s_and_saveexec_b32 s13, s0
	s_cbranch_execz .LBB18_7
; %bb.17:                               ;   in Loop: Header=BB18_8 Depth=1
	v_mul_f32_e32 v9, s2, v18
	s_and_b32 vcc_lo, exec_lo, s1
	s_cbranch_vccz .LBB18_23
; %bb.18:                               ;   in Loop: Header=BB18_8 Depth=1
	s_and_b32 vcc_lo, exec_lo, s3
	s_mov_b32 s14, -1
	s_cbranch_vccz .LBB18_20
; %bb.19:                               ;   in Loop: Header=BB18_8 Depth=1
	global_load_b32 v10, v[5:6], off
	s_mov_b32 s14, 0
	s_waitcnt vmcnt(0)
	v_fma_f32 v10, s12, v10, v9
	global_store_b32 v[5:6], v10, off
.LBB18_20:                              ;   in Loop: Header=BB18_8 Depth=1
	s_and_not1_b32 vcc_lo, exec_lo, s14
	s_cbranch_vccnz .LBB18_22
; %bb.21:                               ;   in Loop: Header=BB18_8 Depth=1
	global_load_b32 v10, v[7:8], off
	s_waitcnt vmcnt(0)
	v_fma_f32 v10, s12, v10, v9
	global_store_b32 v[7:8], v10, off
.LBB18_22:                              ;   in Loop: Header=BB18_8 Depth=1
	s_cbranch_execnz .LBB18_7
	s_branch .LBB18_24
.LBB18_23:                              ;   in Loop: Header=BB18_8 Depth=1
.LBB18_24:                              ;   in Loop: Header=BB18_8 Depth=1
	s_and_b32 vcc_lo, exec_lo, s3
	s_mov_b32 s14, -1
	s_cbranch_vccz .LBB18_26
; %bb.25:                               ;   in Loop: Header=BB18_8 Depth=1
	s_mov_b32 s14, 0
	global_store_b32 v[5:6], v9, off
.LBB18_26:                              ;   in Loop: Header=BB18_8 Depth=1
	s_and_not1_b32 vcc_lo, exec_lo, s14
	s_cbranch_vccnz .LBB18_7
; %bb.27:                               ;   in Loop: Header=BB18_8 Depth=1
	global_store_b32 v[7:8], v9, off
	s_branch .LBB18_7
.LBB18_28:
	s_nop 0
	s_sendmsg sendmsg(MSG_DEALLOC_VGPRS)
	s_endpgm
	.section	.rodata,"a",@progbits
	.p2align	6, 0x0
	.amdhsa_kernel _ZN9rocsparseL29bsrmmnn_small_blockdim_kernelILj64ELj8ELj2EiiaaffEEv20rocsparse_direction_T3_S2_llNS_24const_host_device_scalarIT7_EEPKT2_PKS2_PKT4_PKT5_llS5_PT6_ll16rocsparse_order_21rocsparse_index_base_b
		.amdhsa_group_segment_fixed_size 448
		.amdhsa_private_segment_fixed_size 0
		.amdhsa_kernarg_size 392
		.amdhsa_user_sgpr_count 14
		.amdhsa_user_sgpr_dispatch_ptr 0
		.amdhsa_user_sgpr_queue_ptr 0
		.amdhsa_user_sgpr_kernarg_segment_ptr 1
		.amdhsa_user_sgpr_dispatch_id 0
		.amdhsa_user_sgpr_private_segment_size 0
		.amdhsa_wavefront_size32 1
		.amdhsa_uses_dynamic_stack 0
		.amdhsa_enable_private_segment 0
		.amdhsa_system_sgpr_workgroup_id_x 1
		.amdhsa_system_sgpr_workgroup_id_y 1
		.amdhsa_system_sgpr_workgroup_id_z 0
		.amdhsa_system_sgpr_workgroup_info 0
		.amdhsa_system_vgpr_workitem_id 0
		.amdhsa_next_free_vgpr 46
		.amdhsa_next_free_sgpr 28
		.amdhsa_reserve_vcc 1
		.amdhsa_float_round_mode_32 0
		.amdhsa_float_round_mode_16_64 0
		.amdhsa_float_denorm_mode_32 3
		.amdhsa_float_denorm_mode_16_64 3
		.amdhsa_dx10_clamp 1
		.amdhsa_ieee_mode 1
		.amdhsa_fp16_overflow 0
		.amdhsa_workgroup_processor_mode 1
		.amdhsa_memory_ordered 1
		.amdhsa_forward_progress 0
		.amdhsa_shared_vgpr_count 0
		.amdhsa_exception_fp_ieee_invalid_op 0
		.amdhsa_exception_fp_denorm_src 0
		.amdhsa_exception_fp_ieee_div_zero 0
		.amdhsa_exception_fp_ieee_overflow 0
		.amdhsa_exception_fp_ieee_underflow 0
		.amdhsa_exception_fp_ieee_inexact 0
		.amdhsa_exception_int_div_zero 0
	.end_amdhsa_kernel
	.section	.text._ZN9rocsparseL29bsrmmnn_small_blockdim_kernelILj64ELj8ELj2EiiaaffEEv20rocsparse_direction_T3_S2_llNS_24const_host_device_scalarIT7_EEPKT2_PKS2_PKT4_PKT5_llS5_PT6_ll16rocsparse_order_21rocsparse_index_base_b,"axG",@progbits,_ZN9rocsparseL29bsrmmnn_small_blockdim_kernelILj64ELj8ELj2EiiaaffEEv20rocsparse_direction_T3_S2_llNS_24const_host_device_scalarIT7_EEPKT2_PKS2_PKT4_PKT5_llS5_PT6_ll16rocsparse_order_21rocsparse_index_base_b,comdat
.Lfunc_end18:
	.size	_ZN9rocsparseL29bsrmmnn_small_blockdim_kernelILj64ELj8ELj2EiiaaffEEv20rocsparse_direction_T3_S2_llNS_24const_host_device_scalarIT7_EEPKT2_PKS2_PKT4_PKT5_llS5_PT6_ll16rocsparse_order_21rocsparse_index_base_b, .Lfunc_end18-_ZN9rocsparseL29bsrmmnn_small_blockdim_kernelILj64ELj8ELj2EiiaaffEEv20rocsparse_direction_T3_S2_llNS_24const_host_device_scalarIT7_EEPKT2_PKS2_PKT4_PKT5_llS5_PT6_ll16rocsparse_order_21rocsparse_index_base_b
                                        ; -- End function
	.section	.AMDGPU.csdata,"",@progbits
; Kernel info:
; codeLenInByte = 2076
; NumSgprs: 30
; NumVgprs: 46
; ScratchSize: 0
; MemoryBound: 0
; FloatMode: 240
; IeeeMode: 1
; LDSByteSize: 448 bytes/workgroup (compile time only)
; SGPRBlocks: 3
; VGPRBlocks: 5
; NumSGPRsForWavesPerEU: 30
; NumVGPRsForWavesPerEU: 46
; Occupancy: 16
; WaveLimiterHint : 0
; COMPUTE_PGM_RSRC2:SCRATCH_EN: 0
; COMPUTE_PGM_RSRC2:USER_SGPR: 14
; COMPUTE_PGM_RSRC2:TRAP_HANDLER: 0
; COMPUTE_PGM_RSRC2:TGID_X_EN: 1
; COMPUTE_PGM_RSRC2:TGID_Y_EN: 1
; COMPUTE_PGM_RSRC2:TGID_Z_EN: 0
; COMPUTE_PGM_RSRC2:TIDIG_COMP_CNT: 0
	.section	.text._ZN9rocsparseL29bsrmmnn_small_blockdim_kernelILj64ELj8ELj2EliaaffEEv20rocsparse_direction_T3_S2_llNS_24const_host_device_scalarIT7_EEPKT2_PKS2_PKT4_PKT5_llS5_PT6_ll16rocsparse_order_21rocsparse_index_base_b,"axG",@progbits,_ZN9rocsparseL29bsrmmnn_small_blockdim_kernelILj64ELj8ELj2EliaaffEEv20rocsparse_direction_T3_S2_llNS_24const_host_device_scalarIT7_EEPKT2_PKS2_PKT4_PKT5_llS5_PT6_ll16rocsparse_order_21rocsparse_index_base_b,comdat
	.globl	_ZN9rocsparseL29bsrmmnn_small_blockdim_kernelILj64ELj8ELj2EliaaffEEv20rocsparse_direction_T3_S2_llNS_24const_host_device_scalarIT7_EEPKT2_PKS2_PKT4_PKT5_llS5_PT6_ll16rocsparse_order_21rocsparse_index_base_b ; -- Begin function _ZN9rocsparseL29bsrmmnn_small_blockdim_kernelILj64ELj8ELj2EliaaffEEv20rocsparse_direction_T3_S2_llNS_24const_host_device_scalarIT7_EEPKT2_PKS2_PKT4_PKT5_llS5_PT6_ll16rocsparse_order_21rocsparse_index_base_b
	.p2align	8
	.type	_ZN9rocsparseL29bsrmmnn_small_blockdim_kernelILj64ELj8ELj2EliaaffEEv20rocsparse_direction_T3_S2_llNS_24const_host_device_scalarIT7_EEPKT2_PKS2_PKT4_PKT5_llS5_PT6_ll16rocsparse_order_21rocsparse_index_base_b,@function
_ZN9rocsparseL29bsrmmnn_small_blockdim_kernelILj64ELj8ELj2EliaaffEEv20rocsparse_direction_T3_S2_llNS_24const_host_device_scalarIT7_EEPKT2_PKS2_PKT4_PKT5_llS5_PT6_ll16rocsparse_order_21rocsparse_index_base_b: ; @_ZN9rocsparseL29bsrmmnn_small_blockdim_kernelILj64ELj8ELj2EliaaffEEv20rocsparse_direction_T3_S2_llNS_24const_host_device_scalarIT7_EEPKT2_PKS2_PKT4_PKT5_llS5_PT6_ll16rocsparse_order_21rocsparse_index_base_b
; %bb.0:
	s_clause 0x2
	s_load_b128 s[16:19], s[0:1], 0x78
	s_load_b64 s[2:3], s[0:1], 0x20
	s_load_b64 s[12:13], s[0:1], 0x58
	s_waitcnt lgkmcnt(0)
	s_bitcmp1_b32 s18, 0
	s_cselect_b32 s4, -1, 0
	s_delay_alu instid0(SALU_CYCLE_1)
	s_and_b32 vcc_lo, exec_lo, s4
	s_xor_b32 s4, s4, -1
	s_cbranch_vccnz .LBB19_2
; %bb.1:
	s_load_b32 s2, s[2:3], 0x0
.LBB19_2:
	s_and_not1_b32 vcc_lo, exec_lo, s4
	s_cbranch_vccnz .LBB19_4
; %bb.3:
	s_load_b32 s12, s[12:13], 0x0
.LBB19_4:
	s_waitcnt lgkmcnt(0)
	v_cmp_eq_f32_e64 s3, s2, 0
	v_cmp_eq_f32_e64 s4, s12, 1.0
	s_delay_alu instid0(VALU_DEP_1) | instskip(NEXT) | instid1(SALU_CYCLE_1)
	s_and_b32 s3, s3, s4
	s_and_b32 vcc_lo, exec_lo, s3
	s_cbranch_vccnz .LBB19_28
; %bb.5:
	s_clause 0x1
	s_load_b32 s3, s[0:1], 0x88
	s_load_b128 s[20:23], s[0:1], 0x0
	s_add_u32 s4, s0, 0x88
	s_addc_u32 s5, s1, 0
	v_mov_b32_e32 v5, 0
	s_waitcnt lgkmcnt(0)
	s_cmp_lt_u32 s14, s3
	s_cselect_b32 s6, 12, 18
	s_delay_alu instid0(SALU_CYCLE_1)
	s_add_u32 s4, s4, s6
	s_addc_u32 s5, s5, 0
	global_load_u16 v3, v5, s[4:5]
	s_mov_b32 s4, exec_lo
	s_waitcnt vmcnt(0)
	v_mad_u64_u32 v[1:2], null, s14, v3, v[0:1]
	s_delay_alu instid0(VALU_DEP_1) | instskip(NEXT) | instid1(VALU_DEP_1)
	v_lshrrev_b32_e32 v4, 4, v1
	v_cmpx_gt_i32_e64 s21, v4
	s_cbranch_execz .LBB19_28
; %bb.6:
	s_clause 0x1
	s_load_b128 s[24:27], s[0:1], 0x60
	s_load_b256 s[4:11], s[0:1], 0x28
	v_lshrrev_b32_e32 v8, 3, v1
	s_load_b64 s[18:19], s[0:1], 0x48
	v_and_b32_e32 v16, 7, v1
	v_mul_lo_u32 v3, s3, v3
	v_lshrrev_b32_e32 v6, 3, v0
	v_bfe_u32 v12, v1, 3, 1
	v_lshlrev_b32_e32 v13, 2, v8
	v_lshl_or_b32 v2, s15, 3, v16
	s_cmp_lg_u32 s16, 1
	v_lshlrev_b32_e32 v17, 5, v6
	v_mul_u32_u24_e32 v6, 24, v6
	v_lshrrev_b32_e32 v18, 4, v3
	v_ashrrev_i32_e32 v3, 31, v2
	v_cmp_gt_i32_e64 s0, s22, v2
	s_cselect_b32 s14, -1, 0
	v_or_b32_e32 v20, 0x100, v6
	s_cmp_eq_u32 s20, 0
	v_lshlrev_b64 v[10:11], 2, v[2:3]
	s_waitcnt lgkmcnt(0)
	v_mad_u64_u32 v[0:1], null, v8, s26, 0
	v_mul_lo_u32 v14, v3, s26
	v_mul_lo_u32 v15, v2, s27
	;; [unrolled: 1-line block ×4, first 2 shown]
	v_add_co_u32 v10, vcc_lo, s24, v10
	v_mad_u64_u32 v[6:7], null, v8, s27, v[1:2]
	v_mad_u64_u32 v[8:9], null, v2, s26, 0
	v_add_co_ci_u32_e32 v11, vcc_lo, s25, v11, vcc_lo
	s_cselect_b32 s1, -1, 0
	v_cmp_neq_f32_e64 s13, s12, 0
	s_delay_alu instid0(VALU_DEP_4) | instskip(SKIP_3) | instid1(VALU_DEP_4)
	v_mov_b32_e32 v1, v6
	v_mad_u64_u32 v[6:7], null, v2, s18, s[10:11]
	v_add3_u32 v9, v9, v15, v14
	v_lshl_or_b32 v19, v16, 2, v17
	v_lshlrev_b64 v[0:1], 2, v[0:1]
	v_mad_u32_u24 v21, v16, 3, v20
	s_mov_b32 s3, 0
	v_add3_u32 v7, v3, v7, v22
	v_lshlrev_b64 v[2:3], 2, v[8:9]
	s_delay_alu instid0(VALU_DEP_4) | instskip(SKIP_2) | instid1(VALU_DEP_4)
	v_add_co_u32 v8, vcc_lo, v10, v0
	v_add_co_ci_u32_e32 v9, vcc_lo, v11, v1, vcc_lo
	v_sub_co_u32 v22, s10, v16, s17
	v_add_co_u32 v0, vcc_lo, s24, v2
	v_cndmask_b32_e64 v2, 0, 1, s1
	v_add_co_ci_u32_e32 v1, vcc_lo, s25, v3, vcc_lo
	s_delay_alu instid0(VALU_DEP_3) | instskip(NEXT) | instid1(VALU_DEP_3)
	v_add_co_u32 v10, vcc_lo, v0, v13
	v_lshlrev_b32_e32 v0, v2, v12
	s_delay_alu instid0(VALU_DEP_3) | instskip(SKIP_1) | instid1(VALU_DEP_3)
	v_add_co_ci_u32_e32 v11, vcc_lo, 0, v1, vcc_lo
	v_sub_co_ci_u32_e64 v23, null, 0, 0, s10
	v_add_co_u32 v24, s8, s8, v0
	s_delay_alu instid0(VALU_DEP_1)
	v_add_co_ci_u32_e64 v25, null, s9, 0, s8
	s_and_b32 s1, s1, exec_lo
	s_mov_b32 s8, s17
	s_cselect_b32 s9, 1, 2
	s_branch .LBB19_8
.LBB19_7:                               ;   in Loop: Header=BB19_8 Depth=1
	s_or_b32 exec_lo, exec_lo, s1
	v_add_nc_u32_e32 v4, v4, v18
	s_delay_alu instid0(VALU_DEP_1) | instskip(SKIP_1) | instid1(SALU_CYCLE_1)
	v_cmp_le_i32_e32 vcc_lo, s21, v4
	s_or_b32 s3, vcc_lo, s3
	s_and_not1_b32 exec_lo, exec_lo, s3
	s_cbranch_execz .LBB19_28
.LBB19_8:                               ; =>This Loop Header: Depth=1
                                        ;     Child Loop BB19_11 Depth 2
	v_lshlrev_b64 v[0:1], 3, v[4:5]
	v_mov_b32_e32 v26, 0
	s_mov_b32 s10, exec_lo
	s_delay_alu instid0(VALU_DEP_2) | instskip(NEXT) | instid1(VALU_DEP_3)
	v_add_co_u32 v0, vcc_lo, s4, v0
	v_add_co_ci_u32_e32 v1, vcc_lo, s5, v1, vcc_lo
	global_load_b128 v[0:3], v[0:1], off
	s_waitcnt vmcnt(0)
	v_cmpx_lt_i64_e64 v[0:1], v[2:3]
	s_cbranch_execz .LBB19_16
; %bb.9:                                ;   in Loop: Header=BB19_8 Depth=1
	v_add_co_u32 v12, vcc_lo, v22, v0
	v_add_co_ci_u32_e32 v13, vcc_lo, v23, v1, vcc_lo
	v_sub_co_u32 v2, vcc_lo, v2, s8
	v_subrev_co_ci_u32_e32 v3, vcc_lo, 0, v3, vcc_lo
	s_delay_alu instid0(VALU_DEP_3) | instskip(SKIP_3) | instid1(VALU_DEP_4)
	v_lshlrev_b64 v[14:15], 2, v[12:13]
	v_sub_co_u32 v0, vcc_lo, v0, s8
	v_subrev_co_ci_u32_e32 v1, vcc_lo, 0, v1, vcc_lo
	v_mov_b32_e32 v26, 0
	v_add_co_u32 v12, vcc_lo, s6, v14
	v_add_co_ci_u32_e32 v13, vcc_lo, s7, v15, vcc_lo
	v_add_co_u32 v14, vcc_lo, v24, v14
	v_add_co_ci_u32_e32 v15, vcc_lo, v25, v15, vcc_lo
	s_mov_b32 s11, 0
	s_branch .LBB19_11
.LBB19_10:                              ;   in Loop: Header=BB19_11 Depth=2
	s_or_b32 exec_lo, exec_lo, s1
	v_add_co_u32 v0, vcc_lo, v0, 8
	v_add_co_ci_u32_e32 v1, vcc_lo, 0, v1, vcc_lo
	v_add_co_u32 v12, vcc_lo, v12, 32
	v_add_co_ci_u32_e32 v13, vcc_lo, 0, v13, vcc_lo
	s_delay_alu instid0(VALU_DEP_3) | instskip(SKIP_1) | instid1(VALU_DEP_1)
	v_cmp_ge_i64_e32 vcc_lo, v[0:1], v[2:3]
	v_add_co_u32 v14, s1, v14, 32
	v_add_co_ci_u32_e64 v15, s1, 0, v15, s1
	s_or_b32 s11, vcc_lo, s11
	s_delay_alu instid0(SALU_CYCLE_1)
	s_and_not1_b32 exec_lo, exec_lo, s11
	s_cbranch_execz .LBB19_15
.LBB19_11:                              ;   Parent Loop BB19_8 Depth=1
                                        ; =>  This Inner Loop Header: Depth=2
	v_add_co_u32 v29, vcc_lo, v16, v0
	v_add_co_ci_u32_e32 v30, vcc_lo, 0, v1, vcc_lo
	v_dual_mov_b32 v28, 0 :: v_dual_mov_b32 v27, 0
	s_delay_alu instid0(VALU_DEP_2)
	v_cmp_lt_i64_e32 vcc_lo, v[29:30], v[2:3]
	v_mov_b32_e32 v29, 0
	s_and_saveexec_b32 s1, vcc_lo
	s_cbranch_execz .LBB19_13
; %bb.12:                               ;   in Loop: Header=BB19_11 Depth=2
	v_add_co_u32 v27, vcc_lo, v14, s9
	global_load_b32 v29, v[12:13], off
	v_add_co_ci_u32_e32 v28, vcc_lo, 0, v15, vcc_lo
	s_clause 0x1
	global_load_i8 v30, v[27:28], off
	global_load_u8 v27, v[14:15], off
	s_waitcnt vmcnt(2)
	v_subrev_nc_u32_e32 v28, s17, v29
	s_delay_alu instid0(VALU_DEP_1)
	v_lshlrev_b32_e32 v28, 1, v28
	s_waitcnt vmcnt(1)
	v_cvt_f32_i32_e32 v29, v30
.LBB19_13:                              ;   in Loop: Header=BB19_11 Depth=2
	s_or_b32 exec_lo, exec_lo, s1
	s_delay_alu instid0(VALU_DEP_1)
	v_cvt_i32_f32_e32 v29, v29
	ds_store_b32 v19, v28
	s_waitcnt vmcnt(0)
	ds_store_b8 v21, v27
	ds_store_b8 v21, v29 offset:1
	s_waitcnt lgkmcnt(0)
	s_waitcnt_vscnt null, 0x0
	s_barrier
	buffer_gl0_inv
	s_and_saveexec_b32 s1, s0
	s_cbranch_execz .LBB19_10
; %bb.14:                               ;   in Loop: Header=BB19_11 Depth=2
	ds_load_b128 v[27:30], v17
	ds_load_b128 v[31:34], v17 offset:16
	s_waitcnt lgkmcnt(1)
	v_ashrrev_i32_e32 v36, 31, v27
	v_add_co_u32 v35, vcc_lo, v6, v27
	v_ashrrev_i32_e32 v37, 31, v28
	s_delay_alu instid0(VALU_DEP_3) | instskip(SKIP_1) | instid1(VALU_DEP_3)
	v_add_co_ci_u32_e32 v36, vcc_lo, v7, v36, vcc_lo
	v_add_co_u32 v27, vcc_lo, v6, v28
	v_add_co_ci_u32_e32 v28, vcc_lo, v7, v37, vcc_lo
	s_clause 0x1
	global_load_u16 v35, v[35:36], off
	global_load_u16 v37, v[27:28], off
	v_ashrrev_i32_e32 v36, 31, v29
	v_add_co_u32 v27, vcc_lo, v6, v29
	v_ashrrev_i32_e32 v29, 31, v30
	s_delay_alu instid0(VALU_DEP_3)
	v_add_co_ci_u32_e32 v28, vcc_lo, v7, v36, vcc_lo
	global_load_u16 v36, v[27:28], off
	v_add_co_u32 v27, vcc_lo, v6, v30
	v_add_co_ci_u32_e32 v28, vcc_lo, v7, v29, vcc_lo
	s_waitcnt lgkmcnt(0)
	v_ashrrev_i32_e32 v29, 31, v31
	global_load_u16 v30, v[27:28], off
	v_add_co_u32 v27, vcc_lo, v6, v31
	v_add_co_ci_u32_e32 v28, vcc_lo, v7, v29, vcc_lo
	v_ashrrev_i32_e32 v29, 31, v32
	global_load_u16 v31, v[27:28], off
	v_add_co_u32 v27, vcc_lo, v6, v32
	v_add_co_ci_u32_e32 v28, vcc_lo, v7, v29, vcc_lo
	;; [unrolled: 4-line block ×4, first 2 shown]
	global_load_u16 v27, v[27:28], off
	ds_load_u16 v28, v20
	ds_load_i8 v29, v20 offset:3
	ds_load_i8 v34, v20 offset:4
	ds_load_u16 v38, v20 offset:6
	ds_load_i8 v39, v20 offset:9
	ds_load_i8 v40, v20 offset:10
	ds_load_u16 v41, v20 offset:12
	;; [unrolled: 3-line block ×3, first 2 shown]
	ds_load_i8 v45, v20 offset:21
	ds_load_i8 v46, v20 offset:22
	s_waitcnt lgkmcnt(11)
	v_bfe_i32 v47, v28, 0, 8
	v_ashrrev_i16 v28, 8, v28
	s_waitcnt lgkmcnt(10)
	v_cvt_f32_i32_e32 v29, v29
	s_waitcnt lgkmcnt(8)
	v_bfe_i32 v48, v38, 0, 8
	v_cvt_f32_i32_e32 v34, v34
	v_bfe_i32 v47, v47, 0, 16
	v_bfe_i32 v28, v28, 0, 16
	v_ashrrev_i16 v38, 8, v38
	s_waitcnt lgkmcnt(7)
	v_cvt_f32_i32_e32 v39, v39
	s_waitcnt lgkmcnt(5)
	v_bfe_i32 v49, v41, 0, 8
	v_cvt_f32_i32_e32 v47, v47
	v_cvt_f32_i32_e32 v28, v28
	;; [unrolled: 1-line block ×3, first 2 shown]
	v_ashrrev_i16 v41, 8, v41
	s_waitcnt lgkmcnt(4)
	v_cvt_f32_i32_e32 v42, v42
	s_waitcnt lgkmcnt(2)
	v_bfe_i32 v51, v44, 0, 8
	v_cvt_f32_i32_e32 v43, v43
	v_ashrrev_i16 v44, 8, v44
	s_waitcnt vmcnt(7)
	v_bfe_i32 v50, v35, 0, 8
	v_ashrrev_i16 v35, 8, v35
	s_waitcnt vmcnt(6)
	v_bfe_i32 v52, v37, 0, 8
	v_ashrrev_i16 v37, 8, v37
	v_bfe_i32 v50, v50, 0, 16
	v_bfe_i32 v35, v35, 0, 16
	s_delay_alu instid0(VALU_DEP_4) | instskip(NEXT) | instid1(VALU_DEP_4)
	v_bfe_i32 v52, v52, 0, 16
	v_bfe_i32 v37, v37, 0, 16
	s_delay_alu instid0(VALU_DEP_4) | instskip(NEXT) | instid1(VALU_DEP_4)
	v_cvt_f32_i32_e32 v50, v50
	v_cvt_f32_i32_e32 v35, v35
	s_delay_alu instid0(VALU_DEP_3) | instskip(NEXT) | instid1(VALU_DEP_3)
	v_cvt_f32_i32_e32 v37, v37
	v_fmac_f32_e32 v26, v47, v50
	v_bfe_i32 v47, v48, 0, 16
	s_waitcnt vmcnt(5)
	v_bfe_i32 v48, v36, 0, 8
	v_cvt_f32_i32_e32 v50, v52
	v_fmac_f32_e32 v26, v28, v35
	v_ashrrev_i16 v35, 8, v36
	s_delay_alu instid0(VALU_DEP_4)
	v_bfe_i32 v36, v48, 0, 16
	v_bfe_i32 v28, v38, 0, 16
	s_waitcnt vmcnt(4)
	v_bfe_i32 v38, v30, 0, 8
	v_fmac_f32_e32 v26, v29, v50
	v_cvt_f32_i32_e32 v29, v47
	v_bfe_i32 v35, v35, 0, 16
	v_cvt_f32_i32_e32 v36, v36
	v_cvt_f32_i32_e32 v28, v28
	v_fmac_f32_e32 v26, v34, v37
	v_ashrrev_i16 v30, 8, v30
	v_bfe_i32 v34, v38, 0, 16
	v_cvt_f32_i32_e32 v35, v35
	s_delay_alu instid0(VALU_DEP_4)
	v_fmac_f32_e32 v26, v29, v36
	s_waitcnt vmcnt(3)
	v_bfe_i32 v36, v31, 0, 8
	v_bfe_i32 v30, v30, 0, 16
	v_cvt_f32_i32_e32 v34, v34
	v_bfe_i32 v29, v49, 0, 16
	v_fmac_f32_e32 v26, v28, v35
	v_ashrrev_i16 v31, 8, v31
	v_bfe_i32 v35, v36, 0, 16
	v_cvt_f32_i32_e32 v30, v30
	v_bfe_i32 v28, v41, 0, 16
	v_fmac_f32_e32 v26, v39, v34
	v_cvt_f32_i32_e32 v29, v29
	s_waitcnt vmcnt(2)
	v_bfe_i32 v34, v32, 0, 8
	v_bfe_i32 v31, v31, 0, 16
	v_cvt_f32_i32_e32 v35, v35
	v_fmac_f32_e32 v26, v40, v30
	v_cvt_f32_i32_e32 v28, v28
	v_ashrrev_i16 v30, 8, v32
	v_bfe_i32 v32, v34, 0, 16
	v_cvt_f32_i32_e32 v31, v31
	v_fmac_f32_e32 v26, v29, v35
	s_waitcnt vmcnt(1)
	v_bfe_i32 v34, v33, 0, 8
	v_bfe_i32 v30, v30, 0, 16
	v_cvt_f32_i32_e32 v32, v32
	v_bfe_i32 v29, v51, 0, 16
	v_fmac_f32_e32 v26, v28, v31
	v_ashrrev_i16 v31, 8, v33
	v_bfe_i32 v33, v34, 0, 16
	v_cvt_f32_i32_e32 v30, v30
	v_bfe_i32 v28, v44, 0, 16
	v_fmac_f32_e32 v26, v42, v32
	v_cvt_f32_i32_e32 v29, v29
	s_waitcnt vmcnt(0)
	v_bfe_i32 v32, v27, 0, 8
	v_bfe_i32 v31, v31, 0, 16
	v_cvt_f32_i32_e32 v33, v33
	v_fmac_f32_e32 v26, v43, v30
	v_cvt_f32_i32_e32 v28, v28
	v_bfe_i32 v30, v32, 0, 16
	v_cvt_f32_i32_e32 v31, v31
	v_ashrrev_i16 v27, 8, v27
	v_fmac_f32_e32 v26, v29, v33
	s_waitcnt lgkmcnt(1)
	v_cvt_f32_i32_e32 v29, v45
	v_cvt_f32_i32_e32 v30, v30
	v_bfe_i32 v27, v27, 0, 16
	v_fmac_f32_e32 v26, v28, v31
	s_waitcnt lgkmcnt(0)
	v_cvt_f32_i32_e32 v28, v46
	s_delay_alu instid0(VALU_DEP_3) | instskip(NEXT) | instid1(VALU_DEP_3)
	v_cvt_f32_i32_e32 v27, v27
	v_fmac_f32_e32 v26, v29, v30
	s_delay_alu instid0(VALU_DEP_1)
	v_fmac_f32_e32 v26, v28, v27
	s_branch .LBB19_10
.LBB19_15:                              ;   in Loop: Header=BB19_8 Depth=1
	s_or_b32 exec_lo, exec_lo, s11
.LBB19_16:                              ;   in Loop: Header=BB19_8 Depth=1
	s_delay_alu instid0(SALU_CYCLE_1)
	s_or_b32 exec_lo, exec_lo, s10
	s_and_saveexec_b32 s1, s0
	s_cbranch_execz .LBB19_7
; %bb.17:                               ;   in Loop: Header=BB19_8 Depth=1
	v_mul_f32_e32 v0, s2, v26
	s_and_b32 vcc_lo, exec_lo, s13
	s_cbranch_vccz .LBB19_23
; %bb.18:                               ;   in Loop: Header=BB19_8 Depth=1
	s_and_b32 vcc_lo, exec_lo, s14
	s_mov_b32 s10, -1
	s_cbranch_vccz .LBB19_20
; %bb.19:                               ;   in Loop: Header=BB19_8 Depth=1
	global_load_b32 v1, v[8:9], off
	s_mov_b32 s10, 0
	s_waitcnt vmcnt(0)
	v_fma_f32 v1, s12, v1, v0
	global_store_b32 v[8:9], v1, off
.LBB19_20:                              ;   in Loop: Header=BB19_8 Depth=1
	s_and_not1_b32 vcc_lo, exec_lo, s10
	s_cbranch_vccnz .LBB19_22
; %bb.21:                               ;   in Loop: Header=BB19_8 Depth=1
	global_load_b32 v1, v[10:11], off
	s_waitcnt vmcnt(0)
	v_fma_f32 v1, s12, v1, v0
	global_store_b32 v[10:11], v1, off
.LBB19_22:                              ;   in Loop: Header=BB19_8 Depth=1
	s_cbranch_execnz .LBB19_7
	s_branch .LBB19_24
.LBB19_23:                              ;   in Loop: Header=BB19_8 Depth=1
.LBB19_24:                              ;   in Loop: Header=BB19_8 Depth=1
	s_and_b32 vcc_lo, exec_lo, s14
	s_mov_b32 s10, -1
	s_cbranch_vccz .LBB19_26
; %bb.25:                               ;   in Loop: Header=BB19_8 Depth=1
	s_mov_b32 s10, 0
	global_store_b32 v[8:9], v0, off
.LBB19_26:                              ;   in Loop: Header=BB19_8 Depth=1
	s_and_not1_b32 vcc_lo, exec_lo, s10
	s_cbranch_vccnz .LBB19_7
; %bb.27:                               ;   in Loop: Header=BB19_8 Depth=1
	global_store_b32 v[10:11], v0, off
	s_branch .LBB19_7
.LBB19_28:
	s_nop 0
	s_sendmsg sendmsg(MSG_DEALLOC_VGPRS)
	s_endpgm
	.section	.rodata,"a",@progbits
	.p2align	6, 0x0
	.amdhsa_kernel _ZN9rocsparseL29bsrmmnn_small_blockdim_kernelILj64ELj8ELj2EliaaffEEv20rocsparse_direction_T3_S2_llNS_24const_host_device_scalarIT7_EEPKT2_PKS2_PKT4_PKT5_llS5_PT6_ll16rocsparse_order_21rocsparse_index_base_b
		.amdhsa_group_segment_fixed_size 448
		.amdhsa_private_segment_fixed_size 0
		.amdhsa_kernarg_size 392
		.amdhsa_user_sgpr_count 14
		.amdhsa_user_sgpr_dispatch_ptr 0
		.amdhsa_user_sgpr_queue_ptr 0
		.amdhsa_user_sgpr_kernarg_segment_ptr 1
		.amdhsa_user_sgpr_dispatch_id 0
		.amdhsa_user_sgpr_private_segment_size 0
		.amdhsa_wavefront_size32 1
		.amdhsa_uses_dynamic_stack 0
		.amdhsa_enable_private_segment 0
		.amdhsa_system_sgpr_workgroup_id_x 1
		.amdhsa_system_sgpr_workgroup_id_y 1
		.amdhsa_system_sgpr_workgroup_id_z 0
		.amdhsa_system_sgpr_workgroup_info 0
		.amdhsa_system_vgpr_workitem_id 0
		.amdhsa_next_free_vgpr 53
		.amdhsa_next_free_sgpr 28
		.amdhsa_reserve_vcc 1
		.amdhsa_float_round_mode_32 0
		.amdhsa_float_round_mode_16_64 0
		.amdhsa_float_denorm_mode_32 3
		.amdhsa_float_denorm_mode_16_64 3
		.amdhsa_dx10_clamp 1
		.amdhsa_ieee_mode 1
		.amdhsa_fp16_overflow 0
		.amdhsa_workgroup_processor_mode 1
		.amdhsa_memory_ordered 1
		.amdhsa_forward_progress 0
		.amdhsa_shared_vgpr_count 0
		.amdhsa_exception_fp_ieee_invalid_op 0
		.amdhsa_exception_fp_denorm_src 0
		.amdhsa_exception_fp_ieee_div_zero 0
		.amdhsa_exception_fp_ieee_overflow 0
		.amdhsa_exception_fp_ieee_underflow 0
		.amdhsa_exception_fp_ieee_inexact 0
		.amdhsa_exception_int_div_zero 0
	.end_amdhsa_kernel
	.section	.text._ZN9rocsparseL29bsrmmnn_small_blockdim_kernelILj64ELj8ELj2EliaaffEEv20rocsparse_direction_T3_S2_llNS_24const_host_device_scalarIT7_EEPKT2_PKS2_PKT4_PKT5_llS5_PT6_ll16rocsparse_order_21rocsparse_index_base_b,"axG",@progbits,_ZN9rocsparseL29bsrmmnn_small_blockdim_kernelILj64ELj8ELj2EliaaffEEv20rocsparse_direction_T3_S2_llNS_24const_host_device_scalarIT7_EEPKT2_PKS2_PKT4_PKT5_llS5_PT6_ll16rocsparse_order_21rocsparse_index_base_b,comdat
.Lfunc_end19:
	.size	_ZN9rocsparseL29bsrmmnn_small_blockdim_kernelILj64ELj8ELj2EliaaffEEv20rocsparse_direction_T3_S2_llNS_24const_host_device_scalarIT7_EEPKT2_PKS2_PKT4_PKT5_llS5_PT6_ll16rocsparse_order_21rocsparse_index_base_b, .Lfunc_end19-_ZN9rocsparseL29bsrmmnn_small_blockdim_kernelILj64ELj8ELj2EliaaffEEv20rocsparse_direction_T3_S2_llNS_24const_host_device_scalarIT7_EEPKT2_PKS2_PKT4_PKT5_llS5_PT6_ll16rocsparse_order_21rocsparse_index_base_b
                                        ; -- End function
	.section	.AMDGPU.csdata,"",@progbits
; Kernel info:
; codeLenInByte = 2188
; NumSgprs: 30
; NumVgprs: 53
; ScratchSize: 0
; MemoryBound: 0
; FloatMode: 240
; IeeeMode: 1
; LDSByteSize: 448 bytes/workgroup (compile time only)
; SGPRBlocks: 3
; VGPRBlocks: 6
; NumSGPRsForWavesPerEU: 30
; NumVGPRsForWavesPerEU: 53
; Occupancy: 16
; WaveLimiterHint : 0
; COMPUTE_PGM_RSRC2:SCRATCH_EN: 0
; COMPUTE_PGM_RSRC2:USER_SGPR: 14
; COMPUTE_PGM_RSRC2:TRAP_HANDLER: 0
; COMPUTE_PGM_RSRC2:TGID_X_EN: 1
; COMPUTE_PGM_RSRC2:TGID_Y_EN: 1
; COMPUTE_PGM_RSRC2:TGID_Z_EN: 0
; COMPUTE_PGM_RSRC2:TIDIG_COMP_CNT: 0
	.section	.text._ZN9rocsparseL29bsrmmnn_small_blockdim_kernelILj64ELj8ELj2EllaaffEEv20rocsparse_direction_T3_S2_llNS_24const_host_device_scalarIT7_EEPKT2_PKS2_PKT4_PKT5_llS5_PT6_ll16rocsparse_order_21rocsparse_index_base_b,"axG",@progbits,_ZN9rocsparseL29bsrmmnn_small_blockdim_kernelILj64ELj8ELj2EllaaffEEv20rocsparse_direction_T3_S2_llNS_24const_host_device_scalarIT7_EEPKT2_PKS2_PKT4_PKT5_llS5_PT6_ll16rocsparse_order_21rocsparse_index_base_b,comdat
	.globl	_ZN9rocsparseL29bsrmmnn_small_blockdim_kernelILj64ELj8ELj2EllaaffEEv20rocsparse_direction_T3_S2_llNS_24const_host_device_scalarIT7_EEPKT2_PKS2_PKT4_PKT5_llS5_PT6_ll16rocsparse_order_21rocsparse_index_base_b ; -- Begin function _ZN9rocsparseL29bsrmmnn_small_blockdim_kernelILj64ELj8ELj2EllaaffEEv20rocsparse_direction_T3_S2_llNS_24const_host_device_scalarIT7_EEPKT2_PKS2_PKT4_PKT5_llS5_PT6_ll16rocsparse_order_21rocsparse_index_base_b
	.p2align	8
	.type	_ZN9rocsparseL29bsrmmnn_small_blockdim_kernelILj64ELj8ELj2EllaaffEEv20rocsparse_direction_T3_S2_llNS_24const_host_device_scalarIT7_EEPKT2_PKS2_PKT4_PKT5_llS5_PT6_ll16rocsparse_order_21rocsparse_index_base_b,@function
_ZN9rocsparseL29bsrmmnn_small_blockdim_kernelILj64ELj8ELj2EllaaffEEv20rocsparse_direction_T3_S2_llNS_24const_host_device_scalarIT7_EEPKT2_PKS2_PKT4_PKT5_llS5_PT6_ll16rocsparse_order_21rocsparse_index_base_b: ; @_ZN9rocsparseL29bsrmmnn_small_blockdim_kernelILj64ELj8ELj2EllaaffEEv20rocsparse_direction_T3_S2_llNS_24const_host_device_scalarIT7_EEPKT2_PKS2_PKT4_PKT5_llS5_PT6_ll16rocsparse_order_21rocsparse_index_base_b
; %bb.0:
	s_clause 0x2
	s_load_b128 s[20:23], s[0:1], 0x80
	s_load_b64 s[2:3], s[0:1], 0x28
	s_load_b64 s[12:13], s[0:1], 0x60
	s_waitcnt lgkmcnt(0)
	s_bitcmp1_b32 s22, 0
	s_cselect_b32 s4, -1, 0
	s_delay_alu instid0(SALU_CYCLE_1)
	s_and_b32 vcc_lo, exec_lo, s4
	s_xor_b32 s4, s4, -1
	s_cbranch_vccnz .LBB20_2
; %bb.1:
	s_load_b32 s2, s[2:3], 0x0
.LBB20_2:
	s_and_not1_b32 vcc_lo, exec_lo, s4
	s_cbranch_vccnz .LBB20_4
; %bb.3:
	s_load_b32 s12, s[12:13], 0x0
.LBB20_4:
	s_waitcnt lgkmcnt(0)
	v_cmp_eq_f32_e64 s3, s2, 0
	v_cmp_eq_f32_e64 s4, s12, 1.0
	s_delay_alu instid0(VALU_DEP_1) | instskip(NEXT) | instid1(SALU_CYCLE_1)
	s_and_b32 s3, s3, s4
	s_and_b32 vcc_lo, exec_lo, s3
	s_cbranch_vccnz .LBB20_28
; %bb.5:
	s_clause 0x1
	s_load_b32 s13, s[0:1], 0x90
	s_load_b128 s[16:19], s[0:1], 0x8
	s_add_u32 s3, s0, 0x90
	s_addc_u32 s5, s1, 0
	v_mov_b32_e32 v5, 0
	s_waitcnt lgkmcnt(0)
	s_cmp_lt_u32 s14, s13
	s_cselect_b32 s4, 12, 18
	s_delay_alu instid0(SALU_CYCLE_1)
	s_add_u32 s4, s3, s4
	s_addc_u32 s5, s5, 0
	s_mov_b32 s3, 0
	global_load_u16 v3, v5, s[4:5]
	s_mov_b32 s4, exec_lo
	s_waitcnt vmcnt(0)
	v_mad_u64_u32 v[1:2], null, s14, v3, v[0:1]
	s_delay_alu instid0(VALU_DEP_1) | instskip(NEXT) | instid1(VALU_DEP_1)
	v_lshrrev_b32_e32 v4, 4, v1
	v_cmpx_gt_i64_e64 s[16:17], v[4:5]
	s_cbranch_execz .LBB20_28
; %bb.6:
	s_clause 0x2
	s_load_b128 s[24:27], s[0:1], 0x68
	s_load_b256 s[4:11], s[0:1], 0x30
	s_load_b64 s[22:23], s[0:1], 0x50
	v_dual_mov_b32 v2, v5 :: v_dual_and_b32 v17, 7, v1
	v_lshrrev_b32_e32 v15, 3, v1
	v_bfe_u32 v11, v1, 3, 1
	v_lshrrev_b32_e32 v0, 3, v0
	s_delay_alu instid0(VALU_DEP_4)
	v_lshl_or_b32 v1, s15, 3, v17
	s_load_b32 s1, s[0:1], 0x0
	v_mul_lo_u32 v3, s13, v3
	v_lshlrev_b32_e32 v16, 2, v15
	v_lshlrev_b32_e32 v18, 6, v0
	v_mul_u32_u24_e32 v10, 24, v0
	v_lshlrev_b64 v[6:7], 2, v[1:2]
	v_cmp_gt_i64_e64 s0, s[18:19], v[1:2]
	s_cmp_lg_u32 s20, 1
	v_mov_b32_e32 v12, v5
	v_or_b32_e32 v21, 0x200, v10
	v_lshrrev_b32_e32 v19, 4, v3
	s_waitcnt lgkmcnt(0)
	v_mad_u64_u32 v[8:9], null, v15, s26, 0
	v_mad_u64_u32 v[13:14], null, v1, s26, 0
	s_cselect_b32 s14, -1, 0
	v_cmp_neq_f32_e64 s13, s12, 0
	v_mad_u32_u24 v22, v17, 3, v21
	s_delay_alu instid0(VALU_DEP_4) | instskip(SKIP_2) | instid1(VALU_DEP_1)
	v_mov_b32_e32 v0, v9
	s_cmp_eq_u32 s1, 0
	v_add_co_u32 v16, s1, s24, v16
	v_add_co_ci_u32_e64 v23, null, s25, 0, s1
	s_delay_alu instid0(VALU_DEP_3) | instskip(SKIP_4) | instid1(VALU_DEP_4)
	v_mad_u64_u32 v[9:10], null, v15, s27, v[0:1]
	v_mov_b32_e32 v0, v14
	v_add_co_u32 v10, vcc_lo, s24, v6
	v_add_co_ci_u32_e32 v15, vcc_lo, s25, v7, vcc_lo
	v_mad_u64_u32 v[6:7], null, v1, s22, s[10:11]
	v_mad_u64_u32 v[2:3], null, v1, s27, v[0:1]
	s_cselect_b32 s1, -1, 0
	v_lshlrev_b64 v[8:9], 2, v[8:9]
	v_sub_co_u32 v24, s10, v17, s21
	s_delay_alu instid0(VALU_DEP_4) | instskip(SKIP_4) | instid1(VALU_DEP_3)
	v_mov_b32_e32 v0, v7
	v_sub_co_ci_u32_e64 v25, null, 0, 0, s10
	v_mov_b32_e32 v14, v2
	v_add_co_u32 v7, vcc_lo, v10, v8
	v_add_co_ci_u32_e32 v8, vcc_lo, v15, v9, vcc_lo
	v_lshlrev_b64 v[2:3], 2, v[13:14]
	v_mad_u64_u32 v[13:14], null, v1, s23, v[0:1]
	v_cndmask_b32_e64 v0, 0, 1, s1
	s_and_b32 s1, s1, exec_lo
	s_delay_alu instid0(VALU_DEP_3) | instskip(NEXT) | instid1(VALU_DEP_2)
	v_add_co_u32 v9, vcc_lo, v16, v2
	v_lshlrev_b64 v[0:1], v0, v[11:12]
	v_add_co_ci_u32_e32 v10, vcc_lo, v23, v3, vcc_lo
	v_mov_b32_e32 v23, v13
	v_lshl_or_b32 v20, v17, 3, v18
	s_delay_alu instid0(VALU_DEP_4)
	v_add_co_u32 v26, vcc_lo, s8, v0
	v_add_co_ci_u32_e32 v27, vcc_lo, s9, v1, vcc_lo
	s_mov_b32 s8, s21
	s_cselect_b32 s9, 1, 2
	s_branch .LBB20_8
.LBB20_7:                               ;   in Loop: Header=BB20_8 Depth=1
	s_or_b32 exec_lo, exec_lo, s1
	v_add_co_u32 v4, vcc_lo, v4, v19
	v_add_co_ci_u32_e32 v5, vcc_lo, 0, v5, vcc_lo
	s_delay_alu instid0(VALU_DEP_1) | instskip(SKIP_1) | instid1(SALU_CYCLE_1)
	v_cmp_le_i64_e32 vcc_lo, s[16:17], v[4:5]
	s_or_b32 s3, vcc_lo, s3
	s_and_not1_b32 exec_lo, exec_lo, s3
	s_cbranch_execz .LBB20_28
.LBB20_8:                               ; =>This Loop Header: Depth=1
                                        ;     Child Loop BB20_11 Depth 2
	v_lshlrev_b64 v[0:1], 3, v[4:5]
	v_mov_b32_e32 v28, 0
	s_mov_b32 s10, exec_lo
	s_delay_alu instid0(VALU_DEP_2) | instskip(NEXT) | instid1(VALU_DEP_3)
	v_add_co_u32 v0, vcc_lo, s4, v0
	v_add_co_ci_u32_e32 v1, vcc_lo, s5, v1, vcc_lo
	global_load_b128 v[0:3], v[0:1], off
	s_waitcnt vmcnt(0)
	v_cmpx_lt_i64_e64 v[0:1], v[2:3]
	s_cbranch_execz .LBB20_16
; %bb.9:                                ;   in Loop: Header=BB20_8 Depth=1
	v_add_co_u32 v11, vcc_lo, v24, v0
	v_add_co_ci_u32_e32 v12, vcc_lo, v25, v1, vcc_lo
	v_sub_co_u32 v2, vcc_lo, v2, s8
	v_subrev_co_ci_u32_e32 v3, vcc_lo, 0, v3, vcc_lo
	s_delay_alu instid0(VALU_DEP_3) | instskip(SKIP_3) | instid1(VALU_DEP_4)
	v_lshlrev_b64 v[13:14], 3, v[11:12]
	v_sub_co_u32 v0, vcc_lo, v0, s8
	v_lshlrev_b64 v[15:16], 2, v[11:12]
	v_subrev_co_ci_u32_e32 v1, vcc_lo, 0, v1, vcc_lo
	v_add_co_u32 v11, vcc_lo, s6, v13
	v_add_co_ci_u32_e32 v12, vcc_lo, s7, v14, vcc_lo
	s_delay_alu instid0(VALU_DEP_4)
	v_add_co_u32 v13, vcc_lo, v26, v15
	v_add_co_ci_u32_e32 v14, vcc_lo, v27, v16, vcc_lo
	v_mov_b32_e32 v28, 0
	s_mov_b32 s11, 0
	s_branch .LBB20_11
.LBB20_10:                              ;   in Loop: Header=BB20_11 Depth=2
	s_or_b32 exec_lo, exec_lo, s1
	v_add_co_u32 v0, vcc_lo, v0, 8
	v_add_co_ci_u32_e32 v1, vcc_lo, 0, v1, vcc_lo
	v_add_co_u32 v11, vcc_lo, v11, 64
	v_add_co_ci_u32_e32 v12, vcc_lo, 0, v12, vcc_lo
	s_delay_alu instid0(VALU_DEP_3) | instskip(SKIP_1) | instid1(VALU_DEP_1)
	v_cmp_ge_i64_e32 vcc_lo, v[0:1], v[2:3]
	v_add_co_u32 v13, s1, v13, 32
	v_add_co_ci_u32_e64 v14, s1, 0, v14, s1
	s_or_b32 s11, vcc_lo, s11
	s_delay_alu instid0(SALU_CYCLE_1)
	s_and_not1_b32 exec_lo, exec_lo, s11
	s_cbranch_execz .LBB20_15
.LBB20_11:                              ;   Parent Loop BB20_8 Depth=1
                                        ; =>  This Inner Loop Header: Depth=2
	v_add_co_u32 v29, vcc_lo, v17, v0
	v_add_co_ci_u32_e32 v30, vcc_lo, 0, v1, vcc_lo
	v_mov_b32_e32 v15, 0
	v_mov_b32_e32 v16, 0
	s_delay_alu instid0(VALU_DEP_3)
	v_cmp_lt_i64_e32 vcc_lo, v[29:30], v[2:3]
	v_dual_mov_b32 v29, 0 :: v_dual_mov_b32 v30, 0
	s_and_saveexec_b32 s1, vcc_lo
	s_cbranch_execz .LBB20_13
; %bb.12:                               ;   in Loop: Header=BB20_11 Depth=2
	global_load_b64 v[15:16], v[11:12], off
	v_add_co_u32 v29, vcc_lo, v13, s9
	v_add_co_ci_u32_e32 v30, vcc_lo, 0, v14, vcc_lo
	s_clause 0x1
	global_load_i8 v30, v[29:30], off
	global_load_u8 v29, v[13:14], off
	s_waitcnt vmcnt(2)
	v_sub_co_u32 v15, vcc_lo, v15, s8
	v_subrev_co_ci_u32_e32 v16, vcc_lo, 0, v16, vcc_lo
	s_waitcnt vmcnt(1)
	v_cvt_f32_i32_e32 v30, v30
	s_delay_alu instid0(VALU_DEP_2)
	v_lshlrev_b64 v[15:16], 1, v[15:16]
.LBB20_13:                              ;   in Loop: Header=BB20_11 Depth=2
	s_or_b32 exec_lo, exec_lo, s1
	s_delay_alu instid0(VALU_DEP_1)
	v_cvt_i32_f32_e32 v30, v30
	ds_store_b64 v20, v[15:16]
	s_waitcnt vmcnt(0)
	ds_store_b8 v22, v29
	ds_store_b8 v22, v30 offset:1
	s_waitcnt lgkmcnt(0)
	s_waitcnt_vscnt null, 0x0
	s_barrier
	buffer_gl0_inv
	s_and_saveexec_b32 s1, s0
	s_cbranch_execz .LBB20_10
; %bb.14:                               ;   in Loop: Header=BB20_11 Depth=2
	ds_load_b128 v[29:32], v18
	ds_load_b128 v[33:36], v18 offset:16
	s_waitcnt lgkmcnt(1)
	v_add_co_u32 v15, vcc_lo, v6, v29
	v_add_co_ci_u32_e32 v16, vcc_lo, v23, v30, vcc_lo
	global_load_u16 v37, v[15:16], off
	v_add_co_u32 v15, vcc_lo, v6, v31
	v_add_co_ci_u32_e32 v16, vcc_lo, v23, v32, vcc_lo
	ds_load_b128 v[29:32], v18 offset:32
	global_load_u16 v38, v[15:16], off
	s_waitcnt lgkmcnt(1)
	v_add_co_u32 v15, vcc_lo, v6, v33
	v_add_co_ci_u32_e32 v16, vcc_lo, v23, v34, vcc_lo
	global_load_u16 v39, v[15:16], off
	v_add_co_u32 v15, vcc_lo, v6, v35
	v_add_co_ci_u32_e32 v16, vcc_lo, v23, v36, vcc_lo
	ds_load_b128 v[33:36], v18 offset:48
	global_load_u16 v40, v[15:16], off
	s_waitcnt lgkmcnt(1)
	v_add_co_u32 v15, vcc_lo, v6, v29
	v_add_co_ci_u32_e32 v16, vcc_lo, v23, v30, vcc_lo
	global_load_u16 v29, v[15:16], off
	v_add_co_u32 v15, vcc_lo, v6, v31
	v_add_co_ci_u32_e32 v16, vcc_lo, v23, v32, vcc_lo
	global_load_u16 v30, v[15:16], off
	s_waitcnt lgkmcnt(0)
	v_add_co_u32 v15, vcc_lo, v6, v33
	v_add_co_ci_u32_e32 v16, vcc_lo, v23, v34, vcc_lo
	global_load_u16 v31, v[15:16], off
	v_add_co_u32 v15, vcc_lo, v6, v35
	v_add_co_ci_u32_e32 v16, vcc_lo, v23, v36, vcc_lo
	global_load_u16 v15, v[15:16], off
	ds_load_u16 v16, v21
	ds_load_i8 v32, v21 offset:3
	ds_load_i8 v33, v21 offset:4
	ds_load_u16 v34, v21 offset:6
	ds_load_i8 v35, v21 offset:9
	ds_load_i8 v36, v21 offset:10
	ds_load_u16 v41, v21 offset:12
	;; [unrolled: 3-line block ×3, first 2 shown]
	ds_load_i8 v45, v21 offset:21
	ds_load_i8 v46, v21 offset:22
	s_waitcnt lgkmcnt(11)
	v_bfe_i32 v47, v16, 0, 8
	v_ashrrev_i16 v16, 8, v16
	s_waitcnt lgkmcnt(10)
	v_cvt_f32_i32_e32 v32, v32
	s_waitcnt lgkmcnt(8)
	v_bfe_i32 v48, v34, 0, 8
	v_ashrrev_i16 v34, 8, v34
	v_bfe_i32 v47, v47, 0, 16
	v_bfe_i32 v16, v16, 0, 16
	v_cvt_f32_i32_e32 v33, v33
	s_waitcnt lgkmcnt(7)
	v_cvt_f32_i32_e32 v35, v35
	s_waitcnt lgkmcnt(5)
	v_bfe_i32 v49, v41, 0, 8
	v_cvt_f32_i32_e32 v47, v47
	v_cvt_f32_i32_e32 v16, v16
	;; [unrolled: 1-line block ×3, first 2 shown]
	v_ashrrev_i16 v41, 8, v41
	s_waitcnt lgkmcnt(4)
	v_cvt_f32_i32_e32 v42, v42
	s_waitcnt lgkmcnt(2)
	v_bfe_i32 v51, v44, 0, 8
	v_cvt_f32_i32_e32 v43, v43
	v_ashrrev_i16 v44, 8, v44
	s_waitcnt vmcnt(7)
	v_bfe_i32 v50, v37, 0, 8
	v_ashrrev_i16 v37, 8, v37
	s_delay_alu instid0(VALU_DEP_2) | instskip(NEXT) | instid1(VALU_DEP_2)
	v_bfe_i32 v50, v50, 0, 16
	v_bfe_i32 v37, v37, 0, 16
	s_waitcnt vmcnt(6)
	v_bfe_i32 v52, v38, 0, 8
	v_ashrrev_i16 v38, 8, v38
	v_cvt_f32_i32_e32 v50, v50
	v_cvt_f32_i32_e32 v37, v37
	s_delay_alu instid0(VALU_DEP_4) | instskip(NEXT) | instid1(VALU_DEP_4)
	v_bfe_i32 v52, v52, 0, 16
	v_bfe_i32 v38, v38, 0, 16
	s_delay_alu instid0(VALU_DEP_4)
	v_fmac_f32_e32 v28, v47, v50
	v_bfe_i32 v47, v48, 0, 16
	s_waitcnt vmcnt(5)
	v_bfe_i32 v48, v39, 0, 8
	v_cvt_f32_i32_e32 v50, v52
	v_cvt_f32_i32_e32 v38, v38
	v_fmac_f32_e32 v28, v16, v37
	v_bfe_i32 v16, v34, 0, 16
	v_ashrrev_i16 v34, 8, v39
	v_bfe_i32 v37, v48, 0, 16
	s_waitcnt vmcnt(4)
	v_bfe_i32 v39, v40, 0, 8
	v_fmac_f32_e32 v28, v32, v50
	v_cvt_f32_i32_e32 v32, v47
	v_bfe_i32 v34, v34, 0, 16
	v_cvt_f32_i32_e32 v37, v37
	v_cvt_f32_i32_e32 v16, v16
	v_fmac_f32_e32 v28, v33, v38
	v_ashrrev_i16 v33, 8, v40
	v_bfe_i32 v38, v39, 0, 16
	v_cvt_f32_i32_e32 v34, v34
	s_delay_alu instid0(VALU_DEP_4)
	v_fmac_f32_e32 v28, v32, v37
	s_waitcnt vmcnt(3)
	v_bfe_i32 v37, v29, 0, 8
	v_bfe_i32 v33, v33, 0, 16
	v_cvt_f32_i32_e32 v38, v38
	v_bfe_i32 v32, v49, 0, 16
	v_fmac_f32_e32 v28, v16, v34
	v_ashrrev_i16 v29, 8, v29
	v_bfe_i32 v34, v37, 0, 16
	v_cvt_f32_i32_e32 v33, v33
	v_bfe_i32 v16, v41, 0, 16
	v_fmac_f32_e32 v28, v35, v38
	v_cvt_f32_i32_e32 v32, v32
	s_waitcnt vmcnt(2)
	v_bfe_i32 v35, v30, 0, 8
	v_bfe_i32 v29, v29, 0, 16
	v_cvt_f32_i32_e32 v34, v34
	v_fmac_f32_e32 v28, v36, v33
	v_cvt_f32_i32_e32 v16, v16
	v_ashrrev_i16 v30, 8, v30
	v_bfe_i32 v33, v35, 0, 16
	v_cvt_f32_i32_e32 v29, v29
	v_fmac_f32_e32 v28, v32, v34
	s_waitcnt vmcnt(1)
	v_bfe_i32 v34, v31, 0, 8
	v_bfe_i32 v30, v30, 0, 16
	v_cvt_f32_i32_e32 v33, v33
	v_bfe_i32 v32, v51, 0, 16
	v_fmac_f32_e32 v28, v16, v29
	v_ashrrev_i16 v29, 8, v31
	v_bfe_i32 v31, v34, 0, 16
	v_cvt_f32_i32_e32 v30, v30
	v_bfe_i32 v16, v44, 0, 16
	v_fmac_f32_e32 v28, v42, v33
	v_cvt_f32_i32_e32 v32, v32
	s_waitcnt vmcnt(0)
	v_bfe_i32 v33, v15, 0, 8
	v_bfe_i32 v29, v29, 0, 16
	v_cvt_f32_i32_e32 v31, v31
	v_fmac_f32_e32 v28, v43, v30
	v_cvt_f32_i32_e32 v16, v16
	v_bfe_i32 v30, v33, 0, 16
	v_cvt_f32_i32_e32 v29, v29
	v_ashrrev_i16 v15, 8, v15
	v_fmac_f32_e32 v28, v32, v31
	s_waitcnt lgkmcnt(1)
	v_cvt_f32_i32_e32 v31, v45
	v_cvt_f32_i32_e32 v30, v30
	v_bfe_i32 v15, v15, 0, 16
	v_fmac_f32_e32 v28, v16, v29
	s_waitcnt lgkmcnt(0)
	v_cvt_f32_i32_e32 v16, v46
	s_delay_alu instid0(VALU_DEP_3) | instskip(NEXT) | instid1(VALU_DEP_3)
	v_cvt_f32_i32_e32 v15, v15
	v_fmac_f32_e32 v28, v31, v30
	s_delay_alu instid0(VALU_DEP_1)
	v_fmac_f32_e32 v28, v16, v15
	s_branch .LBB20_10
.LBB20_15:                              ;   in Loop: Header=BB20_8 Depth=1
	s_or_b32 exec_lo, exec_lo, s11
.LBB20_16:                              ;   in Loop: Header=BB20_8 Depth=1
	s_delay_alu instid0(SALU_CYCLE_1)
	s_or_b32 exec_lo, exec_lo, s10
	s_and_saveexec_b32 s1, s0
	s_cbranch_execz .LBB20_7
; %bb.17:                               ;   in Loop: Header=BB20_8 Depth=1
	v_mul_f32_e32 v0, s2, v28
	s_and_b32 vcc_lo, exec_lo, s13
	s_cbranch_vccz .LBB20_23
; %bb.18:                               ;   in Loop: Header=BB20_8 Depth=1
	s_and_b32 vcc_lo, exec_lo, s14
	s_mov_b32 s10, -1
	s_cbranch_vccz .LBB20_20
; %bb.19:                               ;   in Loop: Header=BB20_8 Depth=1
	global_load_b32 v1, v[7:8], off
	s_mov_b32 s10, 0
	s_waitcnt vmcnt(0)
	v_fma_f32 v1, s12, v1, v0
	global_store_b32 v[7:8], v1, off
.LBB20_20:                              ;   in Loop: Header=BB20_8 Depth=1
	s_and_not1_b32 vcc_lo, exec_lo, s10
	s_cbranch_vccnz .LBB20_22
; %bb.21:                               ;   in Loop: Header=BB20_8 Depth=1
	global_load_b32 v1, v[9:10], off
	s_waitcnt vmcnt(0)
	v_fma_f32 v1, s12, v1, v0
	global_store_b32 v[9:10], v1, off
.LBB20_22:                              ;   in Loop: Header=BB20_8 Depth=1
	s_cbranch_execnz .LBB20_7
	s_branch .LBB20_24
.LBB20_23:                              ;   in Loop: Header=BB20_8 Depth=1
.LBB20_24:                              ;   in Loop: Header=BB20_8 Depth=1
	s_and_b32 vcc_lo, exec_lo, s14
	s_mov_b32 s10, -1
	s_cbranch_vccz .LBB20_26
; %bb.25:                               ;   in Loop: Header=BB20_8 Depth=1
	s_mov_b32 s10, 0
	global_store_b32 v[7:8], v0, off
.LBB20_26:                              ;   in Loop: Header=BB20_8 Depth=1
	s_and_not1_b32 vcc_lo, exec_lo, s10
	s_cbranch_vccnz .LBB20_7
; %bb.27:                               ;   in Loop: Header=BB20_8 Depth=1
	global_store_b32 v[9:10], v0, off
	s_branch .LBB20_7
.LBB20_28:
	s_nop 0
	s_sendmsg sendmsg(MSG_DEALLOC_VGPRS)
	s_endpgm
	.section	.rodata,"a",@progbits
	.p2align	6, 0x0
	.amdhsa_kernel _ZN9rocsparseL29bsrmmnn_small_blockdim_kernelILj64ELj8ELj2EllaaffEEv20rocsparse_direction_T3_S2_llNS_24const_host_device_scalarIT7_EEPKT2_PKS2_PKT4_PKT5_llS5_PT6_ll16rocsparse_order_21rocsparse_index_base_b
		.amdhsa_group_segment_fixed_size 704
		.amdhsa_private_segment_fixed_size 0
		.amdhsa_kernarg_size 400
		.amdhsa_user_sgpr_count 14
		.amdhsa_user_sgpr_dispatch_ptr 0
		.amdhsa_user_sgpr_queue_ptr 0
		.amdhsa_user_sgpr_kernarg_segment_ptr 1
		.amdhsa_user_sgpr_dispatch_id 0
		.amdhsa_user_sgpr_private_segment_size 0
		.amdhsa_wavefront_size32 1
		.amdhsa_uses_dynamic_stack 0
		.amdhsa_enable_private_segment 0
		.amdhsa_system_sgpr_workgroup_id_x 1
		.amdhsa_system_sgpr_workgroup_id_y 1
		.amdhsa_system_sgpr_workgroup_id_z 0
		.amdhsa_system_sgpr_workgroup_info 0
		.amdhsa_system_vgpr_workitem_id 0
		.amdhsa_next_free_vgpr 53
		.amdhsa_next_free_sgpr 28
		.amdhsa_reserve_vcc 1
		.amdhsa_float_round_mode_32 0
		.amdhsa_float_round_mode_16_64 0
		.amdhsa_float_denorm_mode_32 3
		.amdhsa_float_denorm_mode_16_64 3
		.amdhsa_dx10_clamp 1
		.amdhsa_ieee_mode 1
		.amdhsa_fp16_overflow 0
		.amdhsa_workgroup_processor_mode 1
		.amdhsa_memory_ordered 1
		.amdhsa_forward_progress 0
		.amdhsa_shared_vgpr_count 0
		.amdhsa_exception_fp_ieee_invalid_op 0
		.amdhsa_exception_fp_denorm_src 0
		.amdhsa_exception_fp_ieee_div_zero 0
		.amdhsa_exception_fp_ieee_overflow 0
		.amdhsa_exception_fp_ieee_underflow 0
		.amdhsa_exception_fp_ieee_inexact 0
		.amdhsa_exception_int_div_zero 0
	.end_amdhsa_kernel
	.section	.text._ZN9rocsparseL29bsrmmnn_small_blockdim_kernelILj64ELj8ELj2EllaaffEEv20rocsparse_direction_T3_S2_llNS_24const_host_device_scalarIT7_EEPKT2_PKS2_PKT4_PKT5_llS5_PT6_ll16rocsparse_order_21rocsparse_index_base_b,"axG",@progbits,_ZN9rocsparseL29bsrmmnn_small_blockdim_kernelILj64ELj8ELj2EllaaffEEv20rocsparse_direction_T3_S2_llNS_24const_host_device_scalarIT7_EEPKT2_PKS2_PKT4_PKT5_llS5_PT6_ll16rocsparse_order_21rocsparse_index_base_b,comdat
.Lfunc_end20:
	.size	_ZN9rocsparseL29bsrmmnn_small_blockdim_kernelILj64ELj8ELj2EllaaffEEv20rocsparse_direction_T3_S2_llNS_24const_host_device_scalarIT7_EEPKT2_PKS2_PKT4_PKT5_llS5_PT6_ll16rocsparse_order_21rocsparse_index_base_b, .Lfunc_end20-_ZN9rocsparseL29bsrmmnn_small_blockdim_kernelILj64ELj8ELj2EllaaffEEv20rocsparse_direction_T3_S2_llNS_24const_host_device_scalarIT7_EEPKT2_PKS2_PKT4_PKT5_llS5_PT6_ll16rocsparse_order_21rocsparse_index_base_b
                                        ; -- End function
	.section	.AMDGPU.csdata,"",@progbits
; Kernel info:
; codeLenInByte = 2204
; NumSgprs: 30
; NumVgprs: 53
; ScratchSize: 0
; MemoryBound: 0
; FloatMode: 240
; IeeeMode: 1
; LDSByteSize: 704 bytes/workgroup (compile time only)
; SGPRBlocks: 3
; VGPRBlocks: 6
; NumSGPRsForWavesPerEU: 30
; NumVGPRsForWavesPerEU: 53
; Occupancy: 16
; WaveLimiterHint : 1
; COMPUTE_PGM_RSRC2:SCRATCH_EN: 0
; COMPUTE_PGM_RSRC2:USER_SGPR: 14
; COMPUTE_PGM_RSRC2:TRAP_HANDLER: 0
; COMPUTE_PGM_RSRC2:TGID_X_EN: 1
; COMPUTE_PGM_RSRC2:TGID_Y_EN: 1
; COMPUTE_PGM_RSRC2:TGID_Z_EN: 0
; COMPUTE_PGM_RSRC2:TIDIG_COMP_CNT: 0
	.section	.text._ZN9rocsparseL29bsrmmnt_small_blockdim_kernelILj64ELj8ELj2EiiffffEEv20rocsparse_direction_T3_S2_llNS_24const_host_device_scalarIT7_EEPKT2_PKS2_PKT4_PKT5_llS5_PT6_ll16rocsparse_order_21rocsparse_index_base_b,"axG",@progbits,_ZN9rocsparseL29bsrmmnt_small_blockdim_kernelILj64ELj8ELj2EiiffffEEv20rocsparse_direction_T3_S2_llNS_24const_host_device_scalarIT7_EEPKT2_PKS2_PKT4_PKT5_llS5_PT6_ll16rocsparse_order_21rocsparse_index_base_b,comdat
	.globl	_ZN9rocsparseL29bsrmmnt_small_blockdim_kernelILj64ELj8ELj2EiiffffEEv20rocsparse_direction_T3_S2_llNS_24const_host_device_scalarIT7_EEPKT2_PKS2_PKT4_PKT5_llS5_PT6_ll16rocsparse_order_21rocsparse_index_base_b ; -- Begin function _ZN9rocsparseL29bsrmmnt_small_blockdim_kernelILj64ELj8ELj2EiiffffEEv20rocsparse_direction_T3_S2_llNS_24const_host_device_scalarIT7_EEPKT2_PKS2_PKT4_PKT5_llS5_PT6_ll16rocsparse_order_21rocsparse_index_base_b
	.p2align	8
	.type	_ZN9rocsparseL29bsrmmnt_small_blockdim_kernelILj64ELj8ELj2EiiffffEEv20rocsparse_direction_T3_S2_llNS_24const_host_device_scalarIT7_EEPKT2_PKS2_PKT4_PKT5_llS5_PT6_ll16rocsparse_order_21rocsparse_index_base_b,@function
_ZN9rocsparseL29bsrmmnt_small_blockdim_kernelILj64ELj8ELj2EiiffffEEv20rocsparse_direction_T3_S2_llNS_24const_host_device_scalarIT7_EEPKT2_PKS2_PKT4_PKT5_llS5_PT6_ll16rocsparse_order_21rocsparse_index_base_b: ; @_ZN9rocsparseL29bsrmmnt_small_blockdim_kernelILj64ELj8ELj2EiiffffEEv20rocsparse_direction_T3_S2_llNS_24const_host_device_scalarIT7_EEPKT2_PKS2_PKT4_PKT5_llS5_PT6_ll16rocsparse_order_21rocsparse_index_base_b
; %bb.0:
	s_clause 0x2
	s_load_b128 s[16:19], s[0:1], 0x78
	s_load_b64 s[2:3], s[0:1], 0x20
	s_load_b64 s[24:25], s[0:1], 0x58
	s_waitcnt lgkmcnt(0)
	s_bitcmp1_b32 s18, 0
	s_cselect_b32 s4, -1, 0
	s_delay_alu instid0(SALU_CYCLE_1)
	s_and_b32 vcc_lo, exec_lo, s4
	s_xor_b32 s4, s4, -1
	s_cbranch_vccnz .LBB21_2
; %bb.1:
	s_load_b32 s2, s[2:3], 0x0
.LBB21_2:
	s_and_not1_b32 vcc_lo, exec_lo, s4
	s_cbranch_vccnz .LBB21_4
; %bb.3:
	s_load_b32 s24, s[24:25], 0x0
.LBB21_4:
	s_waitcnt lgkmcnt(0)
	v_cmp_eq_f32_e64 s3, s2, 0
	v_cmp_eq_f32_e64 s4, s24, 1.0
	s_delay_alu instid0(VALU_DEP_1) | instskip(NEXT) | instid1(SALU_CYCLE_1)
	s_and_b32 s3, s3, s4
	s_and_b32 vcc_lo, exec_lo, s3
	s_cbranch_vccnz .LBB21_30
; %bb.5:
	s_clause 0x1
	s_load_b32 s3, s[0:1], 0x94
	s_load_b128 s[20:23], s[0:1], 0x0
	s_waitcnt lgkmcnt(0)
	s_and_b32 s3, s3, 0xffff
	s_delay_alu instid0(SALU_CYCLE_1) | instskip(SKIP_1) | instid1(VALU_DEP_1)
	v_mad_u64_u32 v[1:2], null, s15, s3, v[0:1]
	s_mov_b32 s3, exec_lo
	v_lshrrev_b32_e32 v2, 4, v1
	s_delay_alu instid0(VALU_DEP_1)
	v_cmpx_gt_i32_e64 s21, v2
	s_cbranch_execz .LBB21_30
; %bb.6:
	s_cmp_lt_i32 s22, 1
	s_cbranch_scc1 .LBB21_30
; %bb.7:
	s_load_b256 s[4:11], s[0:1], 0x28
	v_lshlrev_b32_e32 v2, 2, v2
	s_load_b128 s[12:15], s[0:1], 0x60
	v_lshrrev_b32_e32 v10, 3, v1
	s_cmp_lg_u32 s16, 1
	v_bfe_u32 v17, v1, 3, 1
	s_cselect_b32 s16, -1, 0
	s_cmp_eq_u32 s20, 0
	v_and_b32_e32 v6, 7, v0
	v_lshrrev_b32_e32 v11, 3, v0
	v_lshlrev_b32_e32 v12, 2, v10
	v_cmp_neq_f32_e64 s3, s24, 0
	s_delay_alu instid0(VALU_DEP_3)
	v_lshl_or_b32 v7, v11, 5, 0x300
	s_waitcnt lgkmcnt(0)
	global_load_b64 v[2:3], v2, s[4:5]
	s_load_b64 s[4:5], s[0:1], 0x48
	v_mad_u64_u32 v[4:5], null, v10, s14, 0
	s_cselect_b32 s1, -1, 0
	s_delay_alu instid0(SALU_CYCLE_1) | instskip(SKIP_1) | instid1(VALU_DEP_1)
	v_cndmask_b32_e64 v18, 0, 1, s1
	s_and_b32 s1, s1, exec_lo
	v_dual_mov_b32 v0, v5 :: v_dual_lshlrev_b32 v17, v18, v17
	s_delay_alu instid0(VALU_DEP_1) | instskip(SKIP_1) | instid1(VALU_DEP_2)
	v_mad_u64_u32 v[8:9], null, v10, s15, v[0:1]
	v_mov_b32_e32 v1, 0
	v_mov_b32_e32 v5, v8
	v_mul_u32_u24_e32 v0, 3, v6
	v_mul_u32_u24_e32 v8, 0x60, v11
	v_lshl_or_b32 v9, v6, 2, v7
	s_delay_alu instid0(VALU_DEP_4) | instskip(NEXT) | instid1(VALU_DEP_4)
	v_lshlrev_b64 v[4:5], 2, v[4:5]
	v_lshlrev_b32_e32 v0, 2, v0
	s_delay_alu instid0(VALU_DEP_1) | instskip(SKIP_1) | instid1(VALU_DEP_4)
	v_mad_u32_u24 v10, 0x60, v11, v0
	v_add_co_u32 v11, s0, s12, v12
	v_add_co_u32 v13, vcc_lo, s12, v4
	v_add_co_ci_u32_e64 v12, null, s13, 0, s0
	v_add_co_ci_u32_e32 v14, vcc_lo, s13, v5, vcc_lo
	s_mov_b32 s12, 0
	s_cselect_b32 s13, 1, 2
	s_waitcnt vmcnt(0)
	v_subrev_nc_u32_e32 v15, s17, v2
	v_subrev_nc_u32_e32 v16, s17, v3
	v_cmp_lt_i32_e64 s0, v2, v3
	s_branch .LBB21_9
.LBB21_8:                               ;   in Loop: Header=BB21_9 Depth=1
	s_or_b32 exec_lo, exec_lo, s1
	s_add_i32 s12, s12, 8
	s_delay_alu instid0(SALU_CYCLE_1)
	s_cmp_lt_i32 s12, s22
	s_cbranch_scc0 .LBB21_30
.LBB21_9:                               ; =>This Loop Header: Depth=1
                                        ;     Child Loop BB21_12 Depth 2
                                        ;       Child Loop BB21_16 Depth 3
	v_or_b32_e32 v2, s12, v6
	v_mov_b32_e32 v18, v1
	s_delay_alu instid0(VALU_DEP_2)
	v_ashrrev_i32_e32 v3, 31, v2
	s_and_saveexec_b32 s18, s0
	s_cbranch_execz .LBB21_18
; %bb.10:                               ;   in Loop: Header=BB21_9 Depth=1
	s_delay_alu instid0(VALU_DEP_1) | instskip(SKIP_3) | instid1(VALU_DEP_3)
	v_lshlrev_b64 v[4:5], 2, v[2:3]
	v_cmp_gt_i32_e32 vcc_lo, s22, v2
	v_dual_mov_b32 v18, 0 :: v_dual_mov_b32 v21, v15
	s_mov_b32 s19, 0
	v_add_co_u32 v19, s1, s10, v4
	s_delay_alu instid0(VALU_DEP_1)
	v_add_co_ci_u32_e64 v20, s1, s11, v5, s1
	s_branch .LBB21_12
.LBB21_11:                              ;   in Loop: Header=BB21_12 Depth=2
	s_or_b32 exec_lo, exec_lo, s20
	v_add_nc_u32_e32 v21, 8, v21
	s_delay_alu instid0(VALU_DEP_1) | instskip(NEXT) | instid1(VALU_DEP_1)
	v_cmp_ge_i32_e64 s1, v21, v16
	s_or_b32 s19, s1, s19
	s_delay_alu instid0(SALU_CYCLE_1)
	s_and_not1_b32 exec_lo, exec_lo, s19
	s_cbranch_execz .LBB21_17
.LBB21_12:                              ;   Parent Loop BB21_9 Depth=1
                                        ; =>  This Loop Header: Depth=2
                                        ;       Child Loop BB21_16 Depth 3
	v_dual_mov_b32 v5, 0 :: v_dual_add_nc_u32 v4, v21, v6
	v_mov_b32_e32 v0, 0
	v_mov_b32_e32 v22, 0
	s_mov_b32 s20, exec_lo
	s_delay_alu instid0(VALU_DEP_3)
	v_cmpx_lt_i32_e64 v4, v16
	s_cbranch_execz .LBB21_14
; %bb.13:                               ;   in Loop: Header=BB21_12 Depth=2
	v_ashrrev_i32_e32 v5, 31, v4
	v_lshl_or_b32 v0, v4, 2, v17
	s_delay_alu instid0(VALU_DEP_2) | instskip(NEXT) | instid1(VALU_DEP_2)
	v_lshlrev_b64 v[4:5], 2, v[4:5]
	v_lshlrev_b64 v[22:23], 2, v[0:1]
	v_or_b32_e32 v0, s13, v0
	s_delay_alu instid0(VALU_DEP_3) | instskip(NEXT) | instid1(VALU_DEP_1)
	v_add_co_u32 v4, s1, s6, v4
	v_add_co_ci_u32_e64 v5, s1, s7, v5, s1
	s_delay_alu instid0(VALU_DEP_3) | instskip(SKIP_2) | instid1(VALU_DEP_1)
	v_lshlrev_b64 v[24:25], 2, v[0:1]
	global_load_b32 v26, v[4:5], off
	v_add_co_u32 v4, s1, s8, v22
	v_add_co_ci_u32_e64 v5, s1, s9, v23, s1
	v_add_co_u32 v22, s1, s8, v24
	s_delay_alu instid0(VALU_DEP_1)
	v_add_co_ci_u32_e64 v23, s1, s9, v25, s1
	s_clause 0x1
	global_load_b32 v0, v[4:5], off
	global_load_b32 v22, v[22:23], off
	s_waitcnt vmcnt(2)
	v_subrev_nc_u32_e32 v4, s17, v26
	s_delay_alu instid0(VALU_DEP_1)
	v_lshlrev_b32_e32 v5, 1, v4
.LBB21_14:                              ;   in Loop: Header=BB21_12 Depth=2
	s_or_b32 exec_lo, exec_lo, s20
	ds_store_b32 v9, v5
	s_waitcnt vmcnt(0)
	ds_store_2addr_b32 v10, v0, v22 offset1:1
	s_waitcnt lgkmcnt(0)
	s_waitcnt_vscnt null, 0x0
	s_barrier
	buffer_gl0_inv
	s_and_saveexec_b32 s20, vcc_lo
	s_cbranch_execz .LBB21_11
; %bb.15:                               ;   in Loop: Header=BB21_12 Depth=2
	v_mov_b32_e32 v0, v8
	s_mov_b32 s21, 0
.LBB21_16:                              ;   Parent Loop BB21_9 Depth=1
                                        ;     Parent Loop BB21_12 Depth=2
                                        ; =>    This Inner Loop Header: Depth=3
	s_delay_alu instid0(SALU_CYCLE_1) | instskip(SKIP_1) | instid1(SALU_CYCLE_1)
	v_add_nc_u32_e32 v4, s21, v7
	s_add_i32 s21, s21, 8
	s_cmp_lg_u32 s21, 32
	ds_load_b64 v[4:5], v4
	s_waitcnt lgkmcnt(0)
	v_ashrrev_i32_e32 v26, 31, v4
	v_mul_lo_u32 v28, v4, s5
	v_mad_u64_u32 v[22:23], null, v4, s4, 0
	v_add_nc_u32_e32 v27, 1, v4
	s_delay_alu instid0(VALU_DEP_4)
	v_mul_lo_u32 v32, v26, s4
	v_ashrrev_i32_e32 v29, 31, v5
	v_mul_lo_u32 v30, v5, s5
	v_mad_u64_u32 v[24:25], null, v5, s4, 0
	v_ashrrev_i32_e32 v33, 31, v27
	v_mul_lo_u32 v34, v27, s5
	v_mul_lo_u32 v29, v29, s4
	v_add3_u32 v23, v23, v28, v32
	s_delay_alu instid0(VALU_DEP_1) | instskip(NEXT) | instid1(VALU_DEP_3)
	v_lshlrev_b64 v[22:23], 2, v[22:23]
	v_add3_u32 v25, v25, v30, v29
	s_delay_alu instid0(VALU_DEP_2) | instskip(NEXT) | instid1(VALU_DEP_1)
	v_add_co_u32 v22, s1, v19, v22
	v_add_co_ci_u32_e64 v23, s1, v20, v23, s1
	s_delay_alu instid0(VALU_DEP_3) | instskip(SKIP_3) | instid1(VALU_DEP_2)
	v_lshlrev_b64 v[24:25], 2, v[24:25]
	global_load_b32 v28, v[22:23], off
	v_add_nc_u32_e32 v31, 1, v5
	v_mad_u64_u32 v[4:5], null, v27, s4, 0
	v_ashrrev_i32_e32 v35, 31, v31
	v_mul_lo_u32 v36, v31, s5
	v_mad_u64_u32 v[26:27], null, v31, s4, 0
	v_mul_lo_u32 v31, v33, s4
	s_delay_alu instid0(VALU_DEP_4) | instskip(NEXT) | instid1(VALU_DEP_2)
	v_mul_lo_u32 v33, v35, s4
	v_add3_u32 v5, v5, v34, v31
	s_delay_alu instid0(VALU_DEP_2) | instskip(NEXT) | instid1(VALU_DEP_2)
	v_add3_u32 v27, v27, v36, v33
	v_lshlrev_b64 v[4:5], 2, v[4:5]
	s_delay_alu instid0(VALU_DEP_2) | instskip(NEXT) | instid1(VALU_DEP_2)
	v_lshlrev_b64 v[26:27], 2, v[26:27]
	v_add_co_u32 v4, s1, v19, v4
	s_delay_alu instid0(VALU_DEP_1) | instskip(SKIP_1) | instid1(VALU_DEP_1)
	v_add_co_ci_u32_e64 v5, s1, v20, v5, s1
	v_add_co_u32 v22, s1, v19, v24
	v_add_co_ci_u32_e64 v23, s1, v20, v25, s1
	global_load_b32 v24, v[4:5], off
	v_add_co_u32 v4, s1, v19, v26
	s_delay_alu instid0(VALU_DEP_1)
	v_add_co_ci_u32_e64 v5, s1, v20, v27, s1
	s_clause 0x1
	global_load_b32 v25, v[22:23], off
	global_load_b32 v26, v[4:5], off
	ds_load_b64 v[4:5], v0
	ds_load_2addr_b32 v[22:23], v0 offset0:3 offset1:4
	v_add_nc_u32_e32 v0, 24, v0
	s_waitcnt vmcnt(3) lgkmcnt(1)
	v_fmac_f32_e32 v18, v4, v28
	s_waitcnt vmcnt(2)
	s_delay_alu instid0(VALU_DEP_1) | instskip(SKIP_1) | instid1(VALU_DEP_1)
	v_fmac_f32_e32 v18, v5, v24
	s_waitcnt vmcnt(1) lgkmcnt(0)
	v_fmac_f32_e32 v18, v22, v25
	s_waitcnt vmcnt(0)
	s_delay_alu instid0(VALU_DEP_1)
	v_fmac_f32_e32 v18, v23, v26
	s_cbranch_scc1 .LBB21_16
	s_branch .LBB21_11
.LBB21_17:                              ;   in Loop: Header=BB21_9 Depth=1
	s_or_b32 exec_lo, exec_lo, s19
.LBB21_18:                              ;   in Loop: Header=BB21_9 Depth=1
	s_delay_alu instid0(SALU_CYCLE_1) | instskip(NEXT) | instid1(SALU_CYCLE_1)
	s_or_b32 exec_lo, exec_lo, s18
	s_mov_b32 s1, exec_lo
	v_cmpx_gt_i32_e64 s22, v2
	s_cbranch_execz .LBB21_8
; %bb.19:                               ;   in Loop: Header=BB21_9 Depth=1
	s_and_b32 vcc_lo, exec_lo, s3
	s_cbranch_vccz .LBB21_25
; %bb.20:                               ;   in Loop: Header=BB21_9 Depth=1
	s_and_b32 vcc_lo, exec_lo, s16
	s_mov_b32 s18, -1
	s_cbranch_vccz .LBB21_22
; %bb.21:                               ;   in Loop: Header=BB21_9 Depth=1
	v_lshlrev_b64 v[4:5], 2, v[2:3]
	v_mul_f32_e32 v19, s2, v18
	s_mov_b32 s18, 0
	s_delay_alu instid0(VALU_DEP_2) | instskip(NEXT) | instid1(VALU_DEP_3)
	v_add_co_u32 v4, vcc_lo, v13, v4
	v_add_co_ci_u32_e32 v5, vcc_lo, v14, v5, vcc_lo
	global_load_b32 v0, v[4:5], off
	s_waitcnt vmcnt(0)
	v_fmac_f32_e32 v19, s24, v0
	global_store_b32 v[4:5], v19, off
.LBB21_22:                              ;   in Loop: Header=BB21_9 Depth=1
	s_and_not1_b32 vcc_lo, exec_lo, s18
	s_cbranch_vccnz .LBB21_24
; %bb.23:                               ;   in Loop: Header=BB21_9 Depth=1
	v_mul_lo_u32 v0, v3, s14
	v_mul_lo_u32 v19, v2, s15
	v_mad_u64_u32 v[4:5], null, v2, s14, 0
	s_delay_alu instid0(VALU_DEP_1) | instskip(SKIP_1) | instid1(VALU_DEP_2)
	v_add3_u32 v5, v5, v19, v0
	v_mul_f32_e32 v19, s2, v18
	v_lshlrev_b64 v[4:5], 2, v[4:5]
	s_delay_alu instid0(VALU_DEP_1) | instskip(NEXT) | instid1(VALU_DEP_2)
	v_add_co_u32 v4, vcc_lo, v11, v4
	v_add_co_ci_u32_e32 v5, vcc_lo, v12, v5, vcc_lo
	global_load_b32 v0, v[4:5], off
	s_waitcnt vmcnt(0)
	v_fmac_f32_e32 v19, s24, v0
	global_store_b32 v[4:5], v19, off
.LBB21_24:                              ;   in Loop: Header=BB21_9 Depth=1
	s_cbranch_execnz .LBB21_8
	s_branch .LBB21_26
.LBB21_25:                              ;   in Loop: Header=BB21_9 Depth=1
.LBB21_26:                              ;   in Loop: Header=BB21_9 Depth=1
	v_mul_f32_e32 v0, s2, v18
	s_and_b32 vcc_lo, exec_lo, s16
	s_mov_b32 s18, -1
	s_cbranch_vccz .LBB21_28
; %bb.27:                               ;   in Loop: Header=BB21_9 Depth=1
	v_lshlrev_b64 v[4:5], 2, v[2:3]
	s_mov_b32 s18, 0
	s_delay_alu instid0(VALU_DEP_1) | instskip(NEXT) | instid1(VALU_DEP_2)
	v_add_co_u32 v4, vcc_lo, v13, v4
	v_add_co_ci_u32_e32 v5, vcc_lo, v14, v5, vcc_lo
	global_store_b32 v[4:5], v0, off
.LBB21_28:                              ;   in Loop: Header=BB21_9 Depth=1
	s_and_not1_b32 vcc_lo, exec_lo, s18
	s_cbranch_vccnz .LBB21_8
; %bb.29:                               ;   in Loop: Header=BB21_9 Depth=1
	v_mul_lo_u32 v5, v3, s14
	v_mul_lo_u32 v18, v2, s15
	v_mad_u64_u32 v[3:4], null, v2, s14, 0
	s_delay_alu instid0(VALU_DEP_1) | instskip(NEXT) | instid1(VALU_DEP_1)
	v_add3_u32 v4, v4, v18, v5
	v_lshlrev_b64 v[2:3], 2, v[3:4]
	s_delay_alu instid0(VALU_DEP_1) | instskip(NEXT) | instid1(VALU_DEP_2)
	v_add_co_u32 v2, vcc_lo, v11, v2
	v_add_co_ci_u32_e32 v3, vcc_lo, v12, v3, vcc_lo
	global_store_b32 v[2:3], v0, off
	s_branch .LBB21_8
.LBB21_30:
	s_nop 0
	s_sendmsg sendmsg(MSG_DEALLOC_VGPRS)
	s_endpgm
	.section	.rodata,"a",@progbits
	.p2align	6, 0x0
	.amdhsa_kernel _ZN9rocsparseL29bsrmmnt_small_blockdim_kernelILj64ELj8ELj2EiiffffEEv20rocsparse_direction_T3_S2_llNS_24const_host_device_scalarIT7_EEPKT2_PKS2_PKT4_PKT5_llS5_PT6_ll16rocsparse_order_21rocsparse_index_base_b
		.amdhsa_group_segment_fixed_size 1024
		.amdhsa_private_segment_fixed_size 0
		.amdhsa_kernarg_size 392
		.amdhsa_user_sgpr_count 15
		.amdhsa_user_sgpr_dispatch_ptr 0
		.amdhsa_user_sgpr_queue_ptr 0
		.amdhsa_user_sgpr_kernarg_segment_ptr 1
		.amdhsa_user_sgpr_dispatch_id 0
		.amdhsa_user_sgpr_private_segment_size 0
		.amdhsa_wavefront_size32 1
		.amdhsa_uses_dynamic_stack 0
		.amdhsa_enable_private_segment 0
		.amdhsa_system_sgpr_workgroup_id_x 1
		.amdhsa_system_sgpr_workgroup_id_y 0
		.amdhsa_system_sgpr_workgroup_id_z 0
		.amdhsa_system_sgpr_workgroup_info 0
		.amdhsa_system_vgpr_workitem_id 0
		.amdhsa_next_free_vgpr 37
		.amdhsa_next_free_sgpr 26
		.amdhsa_reserve_vcc 1
		.amdhsa_float_round_mode_32 0
		.amdhsa_float_round_mode_16_64 0
		.amdhsa_float_denorm_mode_32 3
		.amdhsa_float_denorm_mode_16_64 3
		.amdhsa_dx10_clamp 1
		.amdhsa_ieee_mode 1
		.amdhsa_fp16_overflow 0
		.amdhsa_workgroup_processor_mode 1
		.amdhsa_memory_ordered 1
		.amdhsa_forward_progress 0
		.amdhsa_shared_vgpr_count 0
		.amdhsa_exception_fp_ieee_invalid_op 0
		.amdhsa_exception_fp_denorm_src 0
		.amdhsa_exception_fp_ieee_div_zero 0
		.amdhsa_exception_fp_ieee_overflow 0
		.amdhsa_exception_fp_ieee_underflow 0
		.amdhsa_exception_fp_ieee_inexact 0
		.amdhsa_exception_int_div_zero 0
	.end_amdhsa_kernel
	.section	.text._ZN9rocsparseL29bsrmmnt_small_blockdim_kernelILj64ELj8ELj2EiiffffEEv20rocsparse_direction_T3_S2_llNS_24const_host_device_scalarIT7_EEPKT2_PKS2_PKT4_PKT5_llS5_PT6_ll16rocsparse_order_21rocsparse_index_base_b,"axG",@progbits,_ZN9rocsparseL29bsrmmnt_small_blockdim_kernelILj64ELj8ELj2EiiffffEEv20rocsparse_direction_T3_S2_llNS_24const_host_device_scalarIT7_EEPKT2_PKS2_PKT4_PKT5_llS5_PT6_ll16rocsparse_order_21rocsparse_index_base_b,comdat
.Lfunc_end21:
	.size	_ZN9rocsparseL29bsrmmnt_small_blockdim_kernelILj64ELj8ELj2EiiffffEEv20rocsparse_direction_T3_S2_llNS_24const_host_device_scalarIT7_EEPKT2_PKS2_PKT4_PKT5_llS5_PT6_ll16rocsparse_order_21rocsparse_index_base_b, .Lfunc_end21-_ZN9rocsparseL29bsrmmnt_small_blockdim_kernelILj64ELj8ELj2EiiffffEEv20rocsparse_direction_T3_S2_llNS_24const_host_device_scalarIT7_EEPKT2_PKS2_PKT4_PKT5_llS5_PT6_ll16rocsparse_order_21rocsparse_index_base_b
                                        ; -- End function
	.section	.AMDGPU.csdata,"",@progbits
; Kernel info:
; codeLenInByte = 1604
; NumSgprs: 28
; NumVgprs: 37
; ScratchSize: 0
; MemoryBound: 0
; FloatMode: 240
; IeeeMode: 1
; LDSByteSize: 1024 bytes/workgroup (compile time only)
; SGPRBlocks: 3
; VGPRBlocks: 4
; NumSGPRsForWavesPerEU: 28
; NumVGPRsForWavesPerEU: 37
; Occupancy: 16
; WaveLimiterHint : 0
; COMPUTE_PGM_RSRC2:SCRATCH_EN: 0
; COMPUTE_PGM_RSRC2:USER_SGPR: 15
; COMPUTE_PGM_RSRC2:TRAP_HANDLER: 0
; COMPUTE_PGM_RSRC2:TGID_X_EN: 1
; COMPUTE_PGM_RSRC2:TGID_Y_EN: 0
; COMPUTE_PGM_RSRC2:TGID_Z_EN: 0
; COMPUTE_PGM_RSRC2:TIDIG_COMP_CNT: 0
	.section	.text._ZN9rocsparseL29bsrmmnt_small_blockdim_kernelILj64ELj16ELj2EiiffffEEv20rocsparse_direction_T3_S2_llNS_24const_host_device_scalarIT7_EEPKT2_PKS2_PKT4_PKT5_llS5_PT6_ll16rocsparse_order_21rocsparse_index_base_b,"axG",@progbits,_ZN9rocsparseL29bsrmmnt_small_blockdim_kernelILj64ELj16ELj2EiiffffEEv20rocsparse_direction_T3_S2_llNS_24const_host_device_scalarIT7_EEPKT2_PKS2_PKT4_PKT5_llS5_PT6_ll16rocsparse_order_21rocsparse_index_base_b,comdat
	.globl	_ZN9rocsparseL29bsrmmnt_small_blockdim_kernelILj64ELj16ELj2EiiffffEEv20rocsparse_direction_T3_S2_llNS_24const_host_device_scalarIT7_EEPKT2_PKS2_PKT4_PKT5_llS5_PT6_ll16rocsparse_order_21rocsparse_index_base_b ; -- Begin function _ZN9rocsparseL29bsrmmnt_small_blockdim_kernelILj64ELj16ELj2EiiffffEEv20rocsparse_direction_T3_S2_llNS_24const_host_device_scalarIT7_EEPKT2_PKS2_PKT4_PKT5_llS5_PT6_ll16rocsparse_order_21rocsparse_index_base_b
	.p2align	8
	.type	_ZN9rocsparseL29bsrmmnt_small_blockdim_kernelILj64ELj16ELj2EiiffffEEv20rocsparse_direction_T3_S2_llNS_24const_host_device_scalarIT7_EEPKT2_PKS2_PKT4_PKT5_llS5_PT6_ll16rocsparse_order_21rocsparse_index_base_b,@function
_ZN9rocsparseL29bsrmmnt_small_blockdim_kernelILj64ELj16ELj2EiiffffEEv20rocsparse_direction_T3_S2_llNS_24const_host_device_scalarIT7_EEPKT2_PKS2_PKT4_PKT5_llS5_PT6_ll16rocsparse_order_21rocsparse_index_base_b: ; @_ZN9rocsparseL29bsrmmnt_small_blockdim_kernelILj64ELj16ELj2EiiffffEEv20rocsparse_direction_T3_S2_llNS_24const_host_device_scalarIT7_EEPKT2_PKS2_PKT4_PKT5_llS5_PT6_ll16rocsparse_order_21rocsparse_index_base_b
; %bb.0:
	s_clause 0x2
	s_load_b128 s[16:19], s[0:1], 0x78
	s_load_b64 s[2:3], s[0:1], 0x20
	s_load_b64 s[24:25], s[0:1], 0x58
	s_waitcnt lgkmcnt(0)
	s_bitcmp1_b32 s18, 0
	s_cselect_b32 s4, -1, 0
	s_delay_alu instid0(SALU_CYCLE_1)
	s_and_b32 vcc_lo, exec_lo, s4
	s_xor_b32 s4, s4, -1
	s_cbranch_vccnz .LBB22_2
; %bb.1:
	s_load_b32 s2, s[2:3], 0x0
.LBB22_2:
	s_and_not1_b32 vcc_lo, exec_lo, s4
	s_cbranch_vccnz .LBB22_4
; %bb.3:
	s_load_b32 s24, s[24:25], 0x0
.LBB22_4:
	s_waitcnt lgkmcnt(0)
	v_cmp_eq_f32_e64 s3, s2, 0
	v_cmp_eq_f32_e64 s4, s24, 1.0
	s_delay_alu instid0(VALU_DEP_1) | instskip(NEXT) | instid1(SALU_CYCLE_1)
	s_and_b32 s3, s3, s4
	s_and_b32 vcc_lo, exec_lo, s3
	s_cbranch_vccnz .LBB22_30
; %bb.5:
	s_clause 0x1
	s_load_b32 s3, s[0:1], 0x94
	s_load_b128 s[20:23], s[0:1], 0x0
	s_waitcnt lgkmcnt(0)
	s_and_b32 s3, s3, 0xffff
	s_delay_alu instid0(SALU_CYCLE_1) | instskip(SKIP_1) | instid1(VALU_DEP_1)
	v_mad_u64_u32 v[1:2], null, s15, s3, v[0:1]
	s_mov_b32 s3, exec_lo
	v_lshrrev_b32_e32 v2, 5, v1
	s_delay_alu instid0(VALU_DEP_1)
	v_cmpx_gt_i32_e64 s21, v2
	s_cbranch_execz .LBB22_30
; %bb.6:
	s_cmp_lt_i32 s22, 1
	s_cbranch_scc1 .LBB22_30
; %bb.7:
	s_load_b256 s[4:11], s[0:1], 0x28
	v_lshlrev_b32_e32 v2, 2, v2
	s_load_b128 s[12:15], s[0:1], 0x60
	v_lshrrev_b32_e32 v10, 4, v1
	s_cmp_lg_u32 s16, 1
	v_bfe_u32 v17, v1, 4, 1
	s_cselect_b32 s16, -1, 0
	s_cmp_eq_u32 s20, 0
	v_and_b32_e32 v6, 15, v0
	v_lshrrev_b32_e32 v11, 4, v0
	v_lshlrev_b32_e32 v12, 2, v10
	v_cmp_neq_f32_e64 s3, s24, 0
	s_delay_alu instid0(VALU_DEP_3)
	v_lshl_or_b32 v7, v11, 6, 0x300
	s_waitcnt lgkmcnt(0)
	global_load_b64 v[2:3], v2, s[4:5]
	s_load_b64 s[4:5], s[0:1], 0x48
	v_mad_u64_u32 v[4:5], null, v10, s14, 0
	s_cselect_b32 s1, -1, 0
	s_delay_alu instid0(SALU_CYCLE_1) | instskip(SKIP_1) | instid1(VALU_DEP_1)
	v_cndmask_b32_e64 v18, 0, 1, s1
	s_and_b32 s1, s1, exec_lo
	v_dual_mov_b32 v0, v5 :: v_dual_lshlrev_b32 v17, v18, v17
	s_delay_alu instid0(VALU_DEP_1) | instskip(SKIP_1) | instid1(VALU_DEP_2)
	v_mad_u64_u32 v[8:9], null, v10, s15, v[0:1]
	v_mov_b32_e32 v1, 0
	v_mov_b32_e32 v5, v8
	v_mul_u32_u24_e32 v0, 3, v6
	v_mul_u32_u24_e32 v8, 0xc0, v11
	v_lshl_or_b32 v9, v6, 2, v7
	s_delay_alu instid0(VALU_DEP_4) | instskip(NEXT) | instid1(VALU_DEP_4)
	v_lshlrev_b64 v[4:5], 2, v[4:5]
	v_lshlrev_b32_e32 v0, 2, v0
	s_delay_alu instid0(VALU_DEP_1) | instskip(SKIP_1) | instid1(VALU_DEP_4)
	v_mad_u32_u24 v10, 0xc0, v11, v0
	v_add_co_u32 v11, s0, s12, v12
	v_add_co_u32 v13, vcc_lo, s12, v4
	v_add_co_ci_u32_e64 v12, null, s13, 0, s0
	v_add_co_ci_u32_e32 v14, vcc_lo, s13, v5, vcc_lo
	s_mov_b32 s12, 0
	s_cselect_b32 s13, 1, 2
	s_waitcnt vmcnt(0)
	v_subrev_nc_u32_e32 v15, s17, v2
	v_subrev_nc_u32_e32 v16, s17, v3
	v_cmp_lt_i32_e64 s0, v2, v3
	s_branch .LBB22_9
.LBB22_8:                               ;   in Loop: Header=BB22_9 Depth=1
	s_or_b32 exec_lo, exec_lo, s1
	s_add_i32 s12, s12, 16
	s_delay_alu instid0(SALU_CYCLE_1)
	s_cmp_lt_i32 s12, s22
	s_cbranch_scc0 .LBB22_30
.LBB22_9:                               ; =>This Loop Header: Depth=1
                                        ;     Child Loop BB22_12 Depth 2
                                        ;       Child Loop BB22_16 Depth 3
	v_or_b32_e32 v2, s12, v6
	v_mov_b32_e32 v18, v1
	s_delay_alu instid0(VALU_DEP_2)
	v_ashrrev_i32_e32 v3, 31, v2
	s_and_saveexec_b32 s18, s0
	s_cbranch_execz .LBB22_18
; %bb.10:                               ;   in Loop: Header=BB22_9 Depth=1
	s_delay_alu instid0(VALU_DEP_1) | instskip(SKIP_3) | instid1(VALU_DEP_3)
	v_lshlrev_b64 v[4:5], 2, v[2:3]
	v_cmp_gt_i32_e32 vcc_lo, s22, v2
	v_dual_mov_b32 v18, 0 :: v_dual_mov_b32 v21, v15
	s_mov_b32 s19, 0
	v_add_co_u32 v19, s1, s10, v4
	s_delay_alu instid0(VALU_DEP_1)
	v_add_co_ci_u32_e64 v20, s1, s11, v5, s1
	s_branch .LBB22_12
.LBB22_11:                              ;   in Loop: Header=BB22_12 Depth=2
	s_or_b32 exec_lo, exec_lo, s20
	v_add_nc_u32_e32 v21, 16, v21
	s_delay_alu instid0(VALU_DEP_1) | instskip(NEXT) | instid1(VALU_DEP_1)
	v_cmp_ge_i32_e64 s1, v21, v16
	s_or_b32 s19, s1, s19
	s_delay_alu instid0(SALU_CYCLE_1)
	s_and_not1_b32 exec_lo, exec_lo, s19
	s_cbranch_execz .LBB22_17
.LBB22_12:                              ;   Parent Loop BB22_9 Depth=1
                                        ; =>  This Loop Header: Depth=2
                                        ;       Child Loop BB22_16 Depth 3
	v_dual_mov_b32 v5, 0 :: v_dual_add_nc_u32 v4, v21, v6
	v_mov_b32_e32 v0, 0
	v_mov_b32_e32 v22, 0
	s_mov_b32 s20, exec_lo
	s_delay_alu instid0(VALU_DEP_3)
	v_cmpx_lt_i32_e64 v4, v16
	s_cbranch_execz .LBB22_14
; %bb.13:                               ;   in Loop: Header=BB22_12 Depth=2
	v_ashrrev_i32_e32 v5, 31, v4
	v_lshl_or_b32 v0, v4, 2, v17
	s_delay_alu instid0(VALU_DEP_2) | instskip(NEXT) | instid1(VALU_DEP_2)
	v_lshlrev_b64 v[4:5], 2, v[4:5]
	v_lshlrev_b64 v[22:23], 2, v[0:1]
	v_or_b32_e32 v0, s13, v0
	s_delay_alu instid0(VALU_DEP_3) | instskip(NEXT) | instid1(VALU_DEP_1)
	v_add_co_u32 v4, s1, s6, v4
	v_add_co_ci_u32_e64 v5, s1, s7, v5, s1
	s_delay_alu instid0(VALU_DEP_3) | instskip(SKIP_2) | instid1(VALU_DEP_1)
	v_lshlrev_b64 v[24:25], 2, v[0:1]
	global_load_b32 v26, v[4:5], off
	v_add_co_u32 v4, s1, s8, v22
	v_add_co_ci_u32_e64 v5, s1, s9, v23, s1
	v_add_co_u32 v22, s1, s8, v24
	s_delay_alu instid0(VALU_DEP_1)
	v_add_co_ci_u32_e64 v23, s1, s9, v25, s1
	s_clause 0x1
	global_load_b32 v0, v[4:5], off
	global_load_b32 v22, v[22:23], off
	s_waitcnt vmcnt(2)
	v_subrev_nc_u32_e32 v4, s17, v26
	s_delay_alu instid0(VALU_DEP_1)
	v_lshlrev_b32_e32 v5, 1, v4
.LBB22_14:                              ;   in Loop: Header=BB22_12 Depth=2
	s_or_b32 exec_lo, exec_lo, s20
	ds_store_b32 v9, v5
	s_waitcnt vmcnt(0)
	ds_store_2addr_b32 v10, v0, v22 offset1:1
	s_waitcnt lgkmcnt(0)
	s_waitcnt_vscnt null, 0x0
	s_barrier
	buffer_gl0_inv
	s_and_saveexec_b32 s20, vcc_lo
	s_cbranch_execz .LBB22_11
; %bb.15:                               ;   in Loop: Header=BB22_12 Depth=2
	v_mov_b32_e32 v0, v8
	s_mov_b32 s21, 0
.LBB22_16:                              ;   Parent Loop BB22_9 Depth=1
                                        ;     Parent Loop BB22_12 Depth=2
                                        ; =>    This Inner Loop Header: Depth=3
	s_delay_alu instid0(SALU_CYCLE_1) | instskip(SKIP_1) | instid1(SALU_CYCLE_1)
	v_add_nc_u32_e32 v4, s21, v7
	s_add_i32 s21, s21, 8
	s_cmp_lg_u32 s21, 64
	ds_load_b64 v[4:5], v4
	s_waitcnt lgkmcnt(0)
	v_ashrrev_i32_e32 v26, 31, v4
	v_mul_lo_u32 v28, v4, s5
	v_mad_u64_u32 v[22:23], null, v4, s4, 0
	v_add_nc_u32_e32 v27, 1, v4
	s_delay_alu instid0(VALU_DEP_4)
	v_mul_lo_u32 v32, v26, s4
	v_ashrrev_i32_e32 v29, 31, v5
	v_mul_lo_u32 v30, v5, s5
	v_mad_u64_u32 v[24:25], null, v5, s4, 0
	v_ashrrev_i32_e32 v33, 31, v27
	v_mul_lo_u32 v34, v27, s5
	v_mul_lo_u32 v29, v29, s4
	v_add3_u32 v23, v23, v28, v32
	s_delay_alu instid0(VALU_DEP_1) | instskip(NEXT) | instid1(VALU_DEP_3)
	v_lshlrev_b64 v[22:23], 2, v[22:23]
	v_add3_u32 v25, v25, v30, v29
	s_delay_alu instid0(VALU_DEP_2) | instskip(NEXT) | instid1(VALU_DEP_1)
	v_add_co_u32 v22, s1, v19, v22
	v_add_co_ci_u32_e64 v23, s1, v20, v23, s1
	s_delay_alu instid0(VALU_DEP_3) | instskip(SKIP_3) | instid1(VALU_DEP_2)
	v_lshlrev_b64 v[24:25], 2, v[24:25]
	global_load_b32 v28, v[22:23], off
	v_add_nc_u32_e32 v31, 1, v5
	v_mad_u64_u32 v[4:5], null, v27, s4, 0
	v_ashrrev_i32_e32 v35, 31, v31
	v_mul_lo_u32 v36, v31, s5
	v_mad_u64_u32 v[26:27], null, v31, s4, 0
	v_mul_lo_u32 v31, v33, s4
	s_delay_alu instid0(VALU_DEP_4) | instskip(NEXT) | instid1(VALU_DEP_2)
	v_mul_lo_u32 v33, v35, s4
	v_add3_u32 v5, v5, v34, v31
	s_delay_alu instid0(VALU_DEP_2) | instskip(NEXT) | instid1(VALU_DEP_2)
	v_add3_u32 v27, v27, v36, v33
	v_lshlrev_b64 v[4:5], 2, v[4:5]
	s_delay_alu instid0(VALU_DEP_2) | instskip(NEXT) | instid1(VALU_DEP_2)
	v_lshlrev_b64 v[26:27], 2, v[26:27]
	v_add_co_u32 v4, s1, v19, v4
	s_delay_alu instid0(VALU_DEP_1) | instskip(SKIP_1) | instid1(VALU_DEP_1)
	v_add_co_ci_u32_e64 v5, s1, v20, v5, s1
	v_add_co_u32 v22, s1, v19, v24
	v_add_co_ci_u32_e64 v23, s1, v20, v25, s1
	global_load_b32 v24, v[4:5], off
	v_add_co_u32 v4, s1, v19, v26
	s_delay_alu instid0(VALU_DEP_1)
	v_add_co_ci_u32_e64 v5, s1, v20, v27, s1
	s_clause 0x1
	global_load_b32 v25, v[22:23], off
	global_load_b32 v26, v[4:5], off
	ds_load_b64 v[4:5], v0
	ds_load_2addr_b32 v[22:23], v0 offset0:3 offset1:4
	v_add_nc_u32_e32 v0, 24, v0
	s_waitcnt vmcnt(3) lgkmcnt(1)
	v_fmac_f32_e32 v18, v4, v28
	s_waitcnt vmcnt(2)
	s_delay_alu instid0(VALU_DEP_1) | instskip(SKIP_1) | instid1(VALU_DEP_1)
	v_fmac_f32_e32 v18, v5, v24
	s_waitcnt vmcnt(1) lgkmcnt(0)
	v_fmac_f32_e32 v18, v22, v25
	s_waitcnt vmcnt(0)
	s_delay_alu instid0(VALU_DEP_1)
	v_fmac_f32_e32 v18, v23, v26
	s_cbranch_scc1 .LBB22_16
	s_branch .LBB22_11
.LBB22_17:                              ;   in Loop: Header=BB22_9 Depth=1
	s_or_b32 exec_lo, exec_lo, s19
.LBB22_18:                              ;   in Loop: Header=BB22_9 Depth=1
	s_delay_alu instid0(SALU_CYCLE_1) | instskip(NEXT) | instid1(SALU_CYCLE_1)
	s_or_b32 exec_lo, exec_lo, s18
	s_mov_b32 s1, exec_lo
	v_cmpx_gt_i32_e64 s22, v2
	s_cbranch_execz .LBB22_8
; %bb.19:                               ;   in Loop: Header=BB22_9 Depth=1
	s_and_b32 vcc_lo, exec_lo, s3
	s_cbranch_vccz .LBB22_25
; %bb.20:                               ;   in Loop: Header=BB22_9 Depth=1
	s_and_b32 vcc_lo, exec_lo, s16
	s_mov_b32 s18, -1
	s_cbranch_vccz .LBB22_22
; %bb.21:                               ;   in Loop: Header=BB22_9 Depth=1
	v_lshlrev_b64 v[4:5], 2, v[2:3]
	v_mul_f32_e32 v19, s2, v18
	s_mov_b32 s18, 0
	s_delay_alu instid0(VALU_DEP_2) | instskip(NEXT) | instid1(VALU_DEP_3)
	v_add_co_u32 v4, vcc_lo, v13, v4
	v_add_co_ci_u32_e32 v5, vcc_lo, v14, v5, vcc_lo
	global_load_b32 v0, v[4:5], off
	s_waitcnt vmcnt(0)
	v_fmac_f32_e32 v19, s24, v0
	global_store_b32 v[4:5], v19, off
.LBB22_22:                              ;   in Loop: Header=BB22_9 Depth=1
	s_and_not1_b32 vcc_lo, exec_lo, s18
	s_cbranch_vccnz .LBB22_24
; %bb.23:                               ;   in Loop: Header=BB22_9 Depth=1
	v_mul_lo_u32 v0, v3, s14
	v_mul_lo_u32 v19, v2, s15
	v_mad_u64_u32 v[4:5], null, v2, s14, 0
	s_delay_alu instid0(VALU_DEP_1) | instskip(SKIP_1) | instid1(VALU_DEP_2)
	v_add3_u32 v5, v5, v19, v0
	v_mul_f32_e32 v19, s2, v18
	v_lshlrev_b64 v[4:5], 2, v[4:5]
	s_delay_alu instid0(VALU_DEP_1) | instskip(NEXT) | instid1(VALU_DEP_2)
	v_add_co_u32 v4, vcc_lo, v11, v4
	v_add_co_ci_u32_e32 v5, vcc_lo, v12, v5, vcc_lo
	global_load_b32 v0, v[4:5], off
	s_waitcnt vmcnt(0)
	v_fmac_f32_e32 v19, s24, v0
	global_store_b32 v[4:5], v19, off
.LBB22_24:                              ;   in Loop: Header=BB22_9 Depth=1
	s_cbranch_execnz .LBB22_8
	s_branch .LBB22_26
.LBB22_25:                              ;   in Loop: Header=BB22_9 Depth=1
.LBB22_26:                              ;   in Loop: Header=BB22_9 Depth=1
	v_mul_f32_e32 v0, s2, v18
	s_and_b32 vcc_lo, exec_lo, s16
	s_mov_b32 s18, -1
	s_cbranch_vccz .LBB22_28
; %bb.27:                               ;   in Loop: Header=BB22_9 Depth=1
	v_lshlrev_b64 v[4:5], 2, v[2:3]
	s_mov_b32 s18, 0
	s_delay_alu instid0(VALU_DEP_1) | instskip(NEXT) | instid1(VALU_DEP_2)
	v_add_co_u32 v4, vcc_lo, v13, v4
	v_add_co_ci_u32_e32 v5, vcc_lo, v14, v5, vcc_lo
	global_store_b32 v[4:5], v0, off
.LBB22_28:                              ;   in Loop: Header=BB22_9 Depth=1
	s_and_not1_b32 vcc_lo, exec_lo, s18
	s_cbranch_vccnz .LBB22_8
; %bb.29:                               ;   in Loop: Header=BB22_9 Depth=1
	v_mul_lo_u32 v5, v3, s14
	v_mul_lo_u32 v18, v2, s15
	v_mad_u64_u32 v[3:4], null, v2, s14, 0
	s_delay_alu instid0(VALU_DEP_1) | instskip(NEXT) | instid1(VALU_DEP_1)
	v_add3_u32 v4, v4, v18, v5
	v_lshlrev_b64 v[2:3], 2, v[3:4]
	s_delay_alu instid0(VALU_DEP_1) | instskip(NEXT) | instid1(VALU_DEP_2)
	v_add_co_u32 v2, vcc_lo, v11, v2
	v_add_co_ci_u32_e32 v3, vcc_lo, v12, v3, vcc_lo
	global_store_b32 v[2:3], v0, off
	s_branch .LBB22_8
.LBB22_30:
	s_nop 0
	s_sendmsg sendmsg(MSG_DEALLOC_VGPRS)
	s_endpgm
	.section	.rodata,"a",@progbits
	.p2align	6, 0x0
	.amdhsa_kernel _ZN9rocsparseL29bsrmmnt_small_blockdim_kernelILj64ELj16ELj2EiiffffEEv20rocsparse_direction_T3_S2_llNS_24const_host_device_scalarIT7_EEPKT2_PKS2_PKT4_PKT5_llS5_PT6_ll16rocsparse_order_21rocsparse_index_base_b
		.amdhsa_group_segment_fixed_size 1024
		.amdhsa_private_segment_fixed_size 0
		.amdhsa_kernarg_size 392
		.amdhsa_user_sgpr_count 15
		.amdhsa_user_sgpr_dispatch_ptr 0
		.amdhsa_user_sgpr_queue_ptr 0
		.amdhsa_user_sgpr_kernarg_segment_ptr 1
		.amdhsa_user_sgpr_dispatch_id 0
		.amdhsa_user_sgpr_private_segment_size 0
		.amdhsa_wavefront_size32 1
		.amdhsa_uses_dynamic_stack 0
		.amdhsa_enable_private_segment 0
		.amdhsa_system_sgpr_workgroup_id_x 1
		.amdhsa_system_sgpr_workgroup_id_y 0
		.amdhsa_system_sgpr_workgroup_id_z 0
		.amdhsa_system_sgpr_workgroup_info 0
		.amdhsa_system_vgpr_workitem_id 0
		.amdhsa_next_free_vgpr 37
		.amdhsa_next_free_sgpr 26
		.amdhsa_reserve_vcc 1
		.amdhsa_float_round_mode_32 0
		.amdhsa_float_round_mode_16_64 0
		.amdhsa_float_denorm_mode_32 3
		.amdhsa_float_denorm_mode_16_64 3
		.amdhsa_dx10_clamp 1
		.amdhsa_ieee_mode 1
		.amdhsa_fp16_overflow 0
		.amdhsa_workgroup_processor_mode 1
		.amdhsa_memory_ordered 1
		.amdhsa_forward_progress 0
		.amdhsa_shared_vgpr_count 0
		.amdhsa_exception_fp_ieee_invalid_op 0
		.amdhsa_exception_fp_denorm_src 0
		.amdhsa_exception_fp_ieee_div_zero 0
		.amdhsa_exception_fp_ieee_overflow 0
		.amdhsa_exception_fp_ieee_underflow 0
		.amdhsa_exception_fp_ieee_inexact 0
		.amdhsa_exception_int_div_zero 0
	.end_amdhsa_kernel
	.section	.text._ZN9rocsparseL29bsrmmnt_small_blockdim_kernelILj64ELj16ELj2EiiffffEEv20rocsparse_direction_T3_S2_llNS_24const_host_device_scalarIT7_EEPKT2_PKS2_PKT4_PKT5_llS5_PT6_ll16rocsparse_order_21rocsparse_index_base_b,"axG",@progbits,_ZN9rocsparseL29bsrmmnt_small_blockdim_kernelILj64ELj16ELj2EiiffffEEv20rocsparse_direction_T3_S2_llNS_24const_host_device_scalarIT7_EEPKT2_PKS2_PKT4_PKT5_llS5_PT6_ll16rocsparse_order_21rocsparse_index_base_b,comdat
.Lfunc_end22:
	.size	_ZN9rocsparseL29bsrmmnt_small_blockdim_kernelILj64ELj16ELj2EiiffffEEv20rocsparse_direction_T3_S2_llNS_24const_host_device_scalarIT7_EEPKT2_PKS2_PKT4_PKT5_llS5_PT6_ll16rocsparse_order_21rocsparse_index_base_b, .Lfunc_end22-_ZN9rocsparseL29bsrmmnt_small_blockdim_kernelILj64ELj16ELj2EiiffffEEv20rocsparse_direction_T3_S2_llNS_24const_host_device_scalarIT7_EEPKT2_PKS2_PKT4_PKT5_llS5_PT6_ll16rocsparse_order_21rocsparse_index_base_b
                                        ; -- End function
	.section	.AMDGPU.csdata,"",@progbits
; Kernel info:
; codeLenInByte = 1604
; NumSgprs: 28
; NumVgprs: 37
; ScratchSize: 0
; MemoryBound: 0
; FloatMode: 240
; IeeeMode: 1
; LDSByteSize: 1024 bytes/workgroup (compile time only)
; SGPRBlocks: 3
; VGPRBlocks: 4
; NumSGPRsForWavesPerEU: 28
; NumVGPRsForWavesPerEU: 37
; Occupancy: 16
; WaveLimiterHint : 0
; COMPUTE_PGM_RSRC2:SCRATCH_EN: 0
; COMPUTE_PGM_RSRC2:USER_SGPR: 15
; COMPUTE_PGM_RSRC2:TRAP_HANDLER: 0
; COMPUTE_PGM_RSRC2:TGID_X_EN: 1
; COMPUTE_PGM_RSRC2:TGID_Y_EN: 0
; COMPUTE_PGM_RSRC2:TGID_Z_EN: 0
; COMPUTE_PGM_RSRC2:TIDIG_COMP_CNT: 0
	.section	.text._ZN9rocsparseL29bsrmmnt_small_blockdim_kernelILj64ELj32ELj2EiiffffEEv20rocsparse_direction_T3_S2_llNS_24const_host_device_scalarIT7_EEPKT2_PKS2_PKT4_PKT5_llS5_PT6_ll16rocsparse_order_21rocsparse_index_base_b,"axG",@progbits,_ZN9rocsparseL29bsrmmnt_small_blockdim_kernelILj64ELj32ELj2EiiffffEEv20rocsparse_direction_T3_S2_llNS_24const_host_device_scalarIT7_EEPKT2_PKS2_PKT4_PKT5_llS5_PT6_ll16rocsparse_order_21rocsparse_index_base_b,comdat
	.globl	_ZN9rocsparseL29bsrmmnt_small_blockdim_kernelILj64ELj32ELj2EiiffffEEv20rocsparse_direction_T3_S2_llNS_24const_host_device_scalarIT7_EEPKT2_PKS2_PKT4_PKT5_llS5_PT6_ll16rocsparse_order_21rocsparse_index_base_b ; -- Begin function _ZN9rocsparseL29bsrmmnt_small_blockdim_kernelILj64ELj32ELj2EiiffffEEv20rocsparse_direction_T3_S2_llNS_24const_host_device_scalarIT7_EEPKT2_PKS2_PKT4_PKT5_llS5_PT6_ll16rocsparse_order_21rocsparse_index_base_b
	.p2align	8
	.type	_ZN9rocsparseL29bsrmmnt_small_blockdim_kernelILj64ELj32ELj2EiiffffEEv20rocsparse_direction_T3_S2_llNS_24const_host_device_scalarIT7_EEPKT2_PKS2_PKT4_PKT5_llS5_PT6_ll16rocsparse_order_21rocsparse_index_base_b,@function
_ZN9rocsparseL29bsrmmnt_small_blockdim_kernelILj64ELj32ELj2EiiffffEEv20rocsparse_direction_T3_S2_llNS_24const_host_device_scalarIT7_EEPKT2_PKS2_PKT4_PKT5_llS5_PT6_ll16rocsparse_order_21rocsparse_index_base_b: ; @_ZN9rocsparseL29bsrmmnt_small_blockdim_kernelILj64ELj32ELj2EiiffffEEv20rocsparse_direction_T3_S2_llNS_24const_host_device_scalarIT7_EEPKT2_PKS2_PKT4_PKT5_llS5_PT6_ll16rocsparse_order_21rocsparse_index_base_b
; %bb.0:
	s_clause 0x2
	s_load_b128 s[16:19], s[0:1], 0x78
	s_load_b64 s[2:3], s[0:1], 0x20
	s_load_b64 s[24:25], s[0:1], 0x58
	s_waitcnt lgkmcnt(0)
	s_bitcmp1_b32 s18, 0
	s_cselect_b32 s4, -1, 0
	s_delay_alu instid0(SALU_CYCLE_1)
	s_and_b32 vcc_lo, exec_lo, s4
	s_xor_b32 s4, s4, -1
	s_cbranch_vccnz .LBB23_2
; %bb.1:
	s_load_b32 s2, s[2:3], 0x0
.LBB23_2:
	s_and_not1_b32 vcc_lo, exec_lo, s4
	s_cbranch_vccnz .LBB23_4
; %bb.3:
	s_load_b32 s24, s[24:25], 0x0
.LBB23_4:
	s_waitcnt lgkmcnt(0)
	v_cmp_eq_f32_e64 s3, s2, 0
	v_cmp_eq_f32_e64 s4, s24, 1.0
	s_delay_alu instid0(VALU_DEP_1) | instskip(NEXT) | instid1(SALU_CYCLE_1)
	s_and_b32 s3, s3, s4
	s_and_b32 vcc_lo, exec_lo, s3
	s_cbranch_vccnz .LBB23_30
; %bb.5:
	s_clause 0x1
	s_load_b32 s3, s[0:1], 0x94
	s_load_b128 s[20:23], s[0:1], 0x0
	s_waitcnt lgkmcnt(0)
	s_and_b32 s3, s3, 0xffff
	s_delay_alu instid0(SALU_CYCLE_1) | instskip(SKIP_1) | instid1(VALU_DEP_1)
	v_mad_u64_u32 v[1:2], null, s15, s3, v[0:1]
	s_mov_b32 s3, exec_lo
	v_lshrrev_b32_e32 v2, 6, v1
	s_delay_alu instid0(VALU_DEP_1)
	v_cmpx_gt_i32_e64 s21, v2
	s_cbranch_execz .LBB23_30
; %bb.6:
	s_cmp_lt_i32 s22, 1
	s_cbranch_scc1 .LBB23_30
; %bb.7:
	s_load_b256 s[4:11], s[0:1], 0x28
	v_lshlrev_b32_e32 v2, 2, v2
	s_load_b128 s[12:15], s[0:1], 0x60
	v_lshrrev_b32_e32 v10, 5, v1
	s_cmp_lg_u32 s16, 1
	v_bfe_u32 v17, v1, 5, 1
	s_cselect_b32 s16, -1, 0
	s_cmp_eq_u32 s20, 0
	v_and_b32_e32 v6, 31, v0
	v_lshrrev_b32_e32 v11, 5, v0
	v_lshlrev_b32_e32 v12, 2, v10
	v_cmp_neq_f32_e64 s3, s24, 0
	s_delay_alu instid0(VALU_DEP_3)
	v_lshl_or_b32 v7, v11, 7, 0x300
	s_waitcnt lgkmcnt(0)
	global_load_b64 v[2:3], v2, s[4:5]
	s_load_b64 s[4:5], s[0:1], 0x48
	v_mad_u64_u32 v[4:5], null, v10, s14, 0
	s_cselect_b32 s1, -1, 0
	s_delay_alu instid0(SALU_CYCLE_1) | instskip(SKIP_1) | instid1(VALU_DEP_1)
	v_cndmask_b32_e64 v18, 0, 1, s1
	s_and_b32 s1, s1, exec_lo
	v_dual_mov_b32 v0, v5 :: v_dual_lshlrev_b32 v17, v18, v17
	s_delay_alu instid0(VALU_DEP_1) | instskip(SKIP_1) | instid1(VALU_DEP_2)
	v_mad_u64_u32 v[8:9], null, v10, s15, v[0:1]
	v_mov_b32_e32 v1, 0
	v_mov_b32_e32 v5, v8
	v_mul_u32_u24_e32 v0, 3, v6
	v_mul_u32_u24_e32 v8, 0x180, v11
	v_lshl_or_b32 v9, v6, 2, v7
	s_delay_alu instid0(VALU_DEP_4) | instskip(NEXT) | instid1(VALU_DEP_4)
	v_lshlrev_b64 v[4:5], 2, v[4:5]
	v_lshlrev_b32_e32 v0, 2, v0
	s_delay_alu instid0(VALU_DEP_1) | instskip(SKIP_1) | instid1(VALU_DEP_4)
	v_mad_u32_u24 v10, 0x180, v11, v0
	v_add_co_u32 v11, s0, s12, v12
	v_add_co_u32 v13, vcc_lo, s12, v4
	v_add_co_ci_u32_e64 v12, null, s13, 0, s0
	v_add_co_ci_u32_e32 v14, vcc_lo, s13, v5, vcc_lo
	s_mov_b32 s12, 0
	s_cselect_b32 s13, 1, 2
	s_waitcnt vmcnt(0)
	v_subrev_nc_u32_e32 v15, s17, v2
	v_subrev_nc_u32_e32 v16, s17, v3
	v_cmp_lt_i32_e64 s0, v2, v3
	s_branch .LBB23_9
.LBB23_8:                               ;   in Loop: Header=BB23_9 Depth=1
	s_or_b32 exec_lo, exec_lo, s1
	s_add_i32 s12, s12, 32
	s_delay_alu instid0(SALU_CYCLE_1)
	s_cmp_lt_i32 s12, s22
	s_cbranch_scc0 .LBB23_30
.LBB23_9:                               ; =>This Loop Header: Depth=1
                                        ;     Child Loop BB23_12 Depth 2
                                        ;       Child Loop BB23_16 Depth 3
	v_or_b32_e32 v2, s12, v6
	v_mov_b32_e32 v18, v1
	s_delay_alu instid0(VALU_DEP_2)
	v_ashrrev_i32_e32 v3, 31, v2
	s_and_saveexec_b32 s18, s0
	s_cbranch_execz .LBB23_18
; %bb.10:                               ;   in Loop: Header=BB23_9 Depth=1
	s_delay_alu instid0(VALU_DEP_1) | instskip(SKIP_3) | instid1(VALU_DEP_3)
	v_lshlrev_b64 v[4:5], 2, v[2:3]
	v_cmp_gt_i32_e32 vcc_lo, s22, v2
	v_dual_mov_b32 v18, 0 :: v_dual_mov_b32 v21, v15
	s_mov_b32 s19, 0
	v_add_co_u32 v19, s1, s10, v4
	s_delay_alu instid0(VALU_DEP_1)
	v_add_co_ci_u32_e64 v20, s1, s11, v5, s1
	s_branch .LBB23_12
.LBB23_11:                              ;   in Loop: Header=BB23_12 Depth=2
	s_or_b32 exec_lo, exec_lo, s20
	v_add_nc_u32_e32 v21, 32, v21
	s_delay_alu instid0(VALU_DEP_1) | instskip(NEXT) | instid1(VALU_DEP_1)
	v_cmp_ge_i32_e64 s1, v21, v16
	s_or_b32 s19, s1, s19
	s_delay_alu instid0(SALU_CYCLE_1)
	s_and_not1_b32 exec_lo, exec_lo, s19
	s_cbranch_execz .LBB23_17
.LBB23_12:                              ;   Parent Loop BB23_9 Depth=1
                                        ; =>  This Loop Header: Depth=2
                                        ;       Child Loop BB23_16 Depth 3
	v_dual_mov_b32 v5, 0 :: v_dual_add_nc_u32 v4, v21, v6
	v_mov_b32_e32 v0, 0
	v_mov_b32_e32 v22, 0
	s_mov_b32 s20, exec_lo
	s_delay_alu instid0(VALU_DEP_3)
	v_cmpx_lt_i32_e64 v4, v16
	s_cbranch_execz .LBB23_14
; %bb.13:                               ;   in Loop: Header=BB23_12 Depth=2
	v_ashrrev_i32_e32 v5, 31, v4
	v_lshl_or_b32 v0, v4, 2, v17
	s_delay_alu instid0(VALU_DEP_2) | instskip(NEXT) | instid1(VALU_DEP_2)
	v_lshlrev_b64 v[4:5], 2, v[4:5]
	v_lshlrev_b64 v[22:23], 2, v[0:1]
	v_or_b32_e32 v0, s13, v0
	s_delay_alu instid0(VALU_DEP_3) | instskip(NEXT) | instid1(VALU_DEP_1)
	v_add_co_u32 v4, s1, s6, v4
	v_add_co_ci_u32_e64 v5, s1, s7, v5, s1
	s_delay_alu instid0(VALU_DEP_3) | instskip(SKIP_2) | instid1(VALU_DEP_1)
	v_lshlrev_b64 v[24:25], 2, v[0:1]
	global_load_b32 v26, v[4:5], off
	v_add_co_u32 v4, s1, s8, v22
	v_add_co_ci_u32_e64 v5, s1, s9, v23, s1
	v_add_co_u32 v22, s1, s8, v24
	s_delay_alu instid0(VALU_DEP_1)
	v_add_co_ci_u32_e64 v23, s1, s9, v25, s1
	s_clause 0x1
	global_load_b32 v0, v[4:5], off
	global_load_b32 v22, v[22:23], off
	s_waitcnt vmcnt(2)
	v_subrev_nc_u32_e32 v4, s17, v26
	s_delay_alu instid0(VALU_DEP_1)
	v_lshlrev_b32_e32 v5, 1, v4
.LBB23_14:                              ;   in Loop: Header=BB23_12 Depth=2
	s_or_b32 exec_lo, exec_lo, s20
	ds_store_b32 v9, v5
	s_waitcnt vmcnt(0)
	ds_store_2addr_b32 v10, v0, v22 offset1:1
	s_waitcnt lgkmcnt(0)
	s_waitcnt_vscnt null, 0x0
	s_barrier
	buffer_gl0_inv
	s_and_saveexec_b32 s20, vcc_lo
	s_cbranch_execz .LBB23_11
; %bb.15:                               ;   in Loop: Header=BB23_12 Depth=2
	v_mov_b32_e32 v0, v8
	s_mov_b32 s21, 0
.LBB23_16:                              ;   Parent Loop BB23_9 Depth=1
                                        ;     Parent Loop BB23_12 Depth=2
                                        ; =>    This Inner Loop Header: Depth=3
	s_delay_alu instid0(SALU_CYCLE_1) | instskip(SKIP_1) | instid1(SALU_CYCLE_1)
	v_add_nc_u32_e32 v4, s21, v7
	s_add_i32 s21, s21, 8
	s_cmpk_lg_i32 s21, 0x80
	ds_load_b64 v[4:5], v4
	s_waitcnt lgkmcnt(0)
	v_ashrrev_i32_e32 v26, 31, v4
	v_mul_lo_u32 v28, v4, s5
	v_mad_u64_u32 v[22:23], null, v4, s4, 0
	v_add_nc_u32_e32 v27, 1, v4
	s_delay_alu instid0(VALU_DEP_4)
	v_mul_lo_u32 v32, v26, s4
	v_ashrrev_i32_e32 v29, 31, v5
	v_mul_lo_u32 v30, v5, s5
	v_mad_u64_u32 v[24:25], null, v5, s4, 0
	v_ashrrev_i32_e32 v33, 31, v27
	v_mul_lo_u32 v34, v27, s5
	v_mul_lo_u32 v29, v29, s4
	v_add3_u32 v23, v23, v28, v32
	s_delay_alu instid0(VALU_DEP_1) | instskip(NEXT) | instid1(VALU_DEP_3)
	v_lshlrev_b64 v[22:23], 2, v[22:23]
	v_add3_u32 v25, v25, v30, v29
	s_delay_alu instid0(VALU_DEP_2) | instskip(NEXT) | instid1(VALU_DEP_1)
	v_add_co_u32 v22, s1, v19, v22
	v_add_co_ci_u32_e64 v23, s1, v20, v23, s1
	s_delay_alu instid0(VALU_DEP_3) | instskip(SKIP_3) | instid1(VALU_DEP_2)
	v_lshlrev_b64 v[24:25], 2, v[24:25]
	global_load_b32 v28, v[22:23], off
	v_add_nc_u32_e32 v31, 1, v5
	v_mad_u64_u32 v[4:5], null, v27, s4, 0
	v_ashrrev_i32_e32 v35, 31, v31
	v_mul_lo_u32 v36, v31, s5
	v_mad_u64_u32 v[26:27], null, v31, s4, 0
	v_mul_lo_u32 v31, v33, s4
	s_delay_alu instid0(VALU_DEP_4) | instskip(NEXT) | instid1(VALU_DEP_2)
	v_mul_lo_u32 v33, v35, s4
	v_add3_u32 v5, v5, v34, v31
	s_delay_alu instid0(VALU_DEP_2) | instskip(NEXT) | instid1(VALU_DEP_2)
	v_add3_u32 v27, v27, v36, v33
	v_lshlrev_b64 v[4:5], 2, v[4:5]
	s_delay_alu instid0(VALU_DEP_2) | instskip(NEXT) | instid1(VALU_DEP_2)
	v_lshlrev_b64 v[26:27], 2, v[26:27]
	v_add_co_u32 v4, s1, v19, v4
	s_delay_alu instid0(VALU_DEP_1) | instskip(SKIP_1) | instid1(VALU_DEP_1)
	v_add_co_ci_u32_e64 v5, s1, v20, v5, s1
	v_add_co_u32 v22, s1, v19, v24
	v_add_co_ci_u32_e64 v23, s1, v20, v25, s1
	global_load_b32 v24, v[4:5], off
	v_add_co_u32 v4, s1, v19, v26
	s_delay_alu instid0(VALU_DEP_1)
	v_add_co_ci_u32_e64 v5, s1, v20, v27, s1
	s_clause 0x1
	global_load_b32 v25, v[22:23], off
	global_load_b32 v26, v[4:5], off
	ds_load_b64 v[4:5], v0
	ds_load_2addr_b32 v[22:23], v0 offset0:3 offset1:4
	v_add_nc_u32_e32 v0, 24, v0
	s_waitcnt vmcnt(3) lgkmcnt(1)
	v_fmac_f32_e32 v18, v4, v28
	s_waitcnt vmcnt(2)
	s_delay_alu instid0(VALU_DEP_1) | instskip(SKIP_1) | instid1(VALU_DEP_1)
	v_fmac_f32_e32 v18, v5, v24
	s_waitcnt vmcnt(1) lgkmcnt(0)
	v_fmac_f32_e32 v18, v22, v25
	s_waitcnt vmcnt(0)
	s_delay_alu instid0(VALU_DEP_1)
	v_fmac_f32_e32 v18, v23, v26
	s_cbranch_scc1 .LBB23_16
	s_branch .LBB23_11
.LBB23_17:                              ;   in Loop: Header=BB23_9 Depth=1
	s_or_b32 exec_lo, exec_lo, s19
.LBB23_18:                              ;   in Loop: Header=BB23_9 Depth=1
	s_delay_alu instid0(SALU_CYCLE_1) | instskip(NEXT) | instid1(SALU_CYCLE_1)
	s_or_b32 exec_lo, exec_lo, s18
	s_mov_b32 s1, exec_lo
	v_cmpx_gt_i32_e64 s22, v2
	s_cbranch_execz .LBB23_8
; %bb.19:                               ;   in Loop: Header=BB23_9 Depth=1
	s_and_b32 vcc_lo, exec_lo, s3
	s_cbranch_vccz .LBB23_25
; %bb.20:                               ;   in Loop: Header=BB23_9 Depth=1
	s_and_b32 vcc_lo, exec_lo, s16
	s_mov_b32 s18, -1
	s_cbranch_vccz .LBB23_22
; %bb.21:                               ;   in Loop: Header=BB23_9 Depth=1
	v_lshlrev_b64 v[4:5], 2, v[2:3]
	v_mul_f32_e32 v19, s2, v18
	s_mov_b32 s18, 0
	s_delay_alu instid0(VALU_DEP_2) | instskip(NEXT) | instid1(VALU_DEP_3)
	v_add_co_u32 v4, vcc_lo, v13, v4
	v_add_co_ci_u32_e32 v5, vcc_lo, v14, v5, vcc_lo
	global_load_b32 v0, v[4:5], off
	s_waitcnt vmcnt(0)
	v_fmac_f32_e32 v19, s24, v0
	global_store_b32 v[4:5], v19, off
.LBB23_22:                              ;   in Loop: Header=BB23_9 Depth=1
	s_and_not1_b32 vcc_lo, exec_lo, s18
	s_cbranch_vccnz .LBB23_24
; %bb.23:                               ;   in Loop: Header=BB23_9 Depth=1
	v_mul_lo_u32 v0, v3, s14
	v_mul_lo_u32 v19, v2, s15
	v_mad_u64_u32 v[4:5], null, v2, s14, 0
	s_delay_alu instid0(VALU_DEP_1) | instskip(SKIP_1) | instid1(VALU_DEP_2)
	v_add3_u32 v5, v5, v19, v0
	v_mul_f32_e32 v19, s2, v18
	v_lshlrev_b64 v[4:5], 2, v[4:5]
	s_delay_alu instid0(VALU_DEP_1) | instskip(NEXT) | instid1(VALU_DEP_2)
	v_add_co_u32 v4, vcc_lo, v11, v4
	v_add_co_ci_u32_e32 v5, vcc_lo, v12, v5, vcc_lo
	global_load_b32 v0, v[4:5], off
	s_waitcnt vmcnt(0)
	v_fmac_f32_e32 v19, s24, v0
	global_store_b32 v[4:5], v19, off
.LBB23_24:                              ;   in Loop: Header=BB23_9 Depth=1
	s_cbranch_execnz .LBB23_8
	s_branch .LBB23_26
.LBB23_25:                              ;   in Loop: Header=BB23_9 Depth=1
.LBB23_26:                              ;   in Loop: Header=BB23_9 Depth=1
	v_mul_f32_e32 v0, s2, v18
	s_and_b32 vcc_lo, exec_lo, s16
	s_mov_b32 s18, -1
	s_cbranch_vccz .LBB23_28
; %bb.27:                               ;   in Loop: Header=BB23_9 Depth=1
	v_lshlrev_b64 v[4:5], 2, v[2:3]
	s_mov_b32 s18, 0
	s_delay_alu instid0(VALU_DEP_1) | instskip(NEXT) | instid1(VALU_DEP_2)
	v_add_co_u32 v4, vcc_lo, v13, v4
	v_add_co_ci_u32_e32 v5, vcc_lo, v14, v5, vcc_lo
	global_store_b32 v[4:5], v0, off
.LBB23_28:                              ;   in Loop: Header=BB23_9 Depth=1
	s_and_not1_b32 vcc_lo, exec_lo, s18
	s_cbranch_vccnz .LBB23_8
; %bb.29:                               ;   in Loop: Header=BB23_9 Depth=1
	v_mul_lo_u32 v5, v3, s14
	v_mul_lo_u32 v18, v2, s15
	v_mad_u64_u32 v[3:4], null, v2, s14, 0
	s_delay_alu instid0(VALU_DEP_1) | instskip(NEXT) | instid1(VALU_DEP_1)
	v_add3_u32 v4, v4, v18, v5
	v_lshlrev_b64 v[2:3], 2, v[3:4]
	s_delay_alu instid0(VALU_DEP_1) | instskip(NEXT) | instid1(VALU_DEP_2)
	v_add_co_u32 v2, vcc_lo, v11, v2
	v_add_co_ci_u32_e32 v3, vcc_lo, v12, v3, vcc_lo
	global_store_b32 v[2:3], v0, off
	s_branch .LBB23_8
.LBB23_30:
	s_nop 0
	s_sendmsg sendmsg(MSG_DEALLOC_VGPRS)
	s_endpgm
	.section	.rodata,"a",@progbits
	.p2align	6, 0x0
	.amdhsa_kernel _ZN9rocsparseL29bsrmmnt_small_blockdim_kernelILj64ELj32ELj2EiiffffEEv20rocsparse_direction_T3_S2_llNS_24const_host_device_scalarIT7_EEPKT2_PKS2_PKT4_PKT5_llS5_PT6_ll16rocsparse_order_21rocsparse_index_base_b
		.amdhsa_group_segment_fixed_size 1024
		.amdhsa_private_segment_fixed_size 0
		.amdhsa_kernarg_size 392
		.amdhsa_user_sgpr_count 15
		.amdhsa_user_sgpr_dispatch_ptr 0
		.amdhsa_user_sgpr_queue_ptr 0
		.amdhsa_user_sgpr_kernarg_segment_ptr 1
		.amdhsa_user_sgpr_dispatch_id 0
		.amdhsa_user_sgpr_private_segment_size 0
		.amdhsa_wavefront_size32 1
		.amdhsa_uses_dynamic_stack 0
		.amdhsa_enable_private_segment 0
		.amdhsa_system_sgpr_workgroup_id_x 1
		.amdhsa_system_sgpr_workgroup_id_y 0
		.amdhsa_system_sgpr_workgroup_id_z 0
		.amdhsa_system_sgpr_workgroup_info 0
		.amdhsa_system_vgpr_workitem_id 0
		.amdhsa_next_free_vgpr 37
		.amdhsa_next_free_sgpr 26
		.amdhsa_reserve_vcc 1
		.amdhsa_float_round_mode_32 0
		.amdhsa_float_round_mode_16_64 0
		.amdhsa_float_denorm_mode_32 3
		.amdhsa_float_denorm_mode_16_64 3
		.amdhsa_dx10_clamp 1
		.amdhsa_ieee_mode 1
		.amdhsa_fp16_overflow 0
		.amdhsa_workgroup_processor_mode 1
		.amdhsa_memory_ordered 1
		.amdhsa_forward_progress 0
		.amdhsa_shared_vgpr_count 0
		.amdhsa_exception_fp_ieee_invalid_op 0
		.amdhsa_exception_fp_denorm_src 0
		.amdhsa_exception_fp_ieee_div_zero 0
		.amdhsa_exception_fp_ieee_overflow 0
		.amdhsa_exception_fp_ieee_underflow 0
		.amdhsa_exception_fp_ieee_inexact 0
		.amdhsa_exception_int_div_zero 0
	.end_amdhsa_kernel
	.section	.text._ZN9rocsparseL29bsrmmnt_small_blockdim_kernelILj64ELj32ELj2EiiffffEEv20rocsparse_direction_T3_S2_llNS_24const_host_device_scalarIT7_EEPKT2_PKS2_PKT4_PKT5_llS5_PT6_ll16rocsparse_order_21rocsparse_index_base_b,"axG",@progbits,_ZN9rocsparseL29bsrmmnt_small_blockdim_kernelILj64ELj32ELj2EiiffffEEv20rocsparse_direction_T3_S2_llNS_24const_host_device_scalarIT7_EEPKT2_PKS2_PKT4_PKT5_llS5_PT6_ll16rocsparse_order_21rocsparse_index_base_b,comdat
.Lfunc_end23:
	.size	_ZN9rocsparseL29bsrmmnt_small_blockdim_kernelILj64ELj32ELj2EiiffffEEv20rocsparse_direction_T3_S2_llNS_24const_host_device_scalarIT7_EEPKT2_PKS2_PKT4_PKT5_llS5_PT6_ll16rocsparse_order_21rocsparse_index_base_b, .Lfunc_end23-_ZN9rocsparseL29bsrmmnt_small_blockdim_kernelILj64ELj32ELj2EiiffffEEv20rocsparse_direction_T3_S2_llNS_24const_host_device_scalarIT7_EEPKT2_PKS2_PKT4_PKT5_llS5_PT6_ll16rocsparse_order_21rocsparse_index_base_b
                                        ; -- End function
	.section	.AMDGPU.csdata,"",@progbits
; Kernel info:
; codeLenInByte = 1604
; NumSgprs: 28
; NumVgprs: 37
; ScratchSize: 0
; MemoryBound: 0
; FloatMode: 240
; IeeeMode: 1
; LDSByteSize: 1024 bytes/workgroup (compile time only)
; SGPRBlocks: 3
; VGPRBlocks: 4
; NumSGPRsForWavesPerEU: 28
; NumVGPRsForWavesPerEU: 37
; Occupancy: 16
; WaveLimiterHint : 0
; COMPUTE_PGM_RSRC2:SCRATCH_EN: 0
; COMPUTE_PGM_RSRC2:USER_SGPR: 15
; COMPUTE_PGM_RSRC2:TRAP_HANDLER: 0
; COMPUTE_PGM_RSRC2:TGID_X_EN: 1
; COMPUTE_PGM_RSRC2:TGID_Y_EN: 0
; COMPUTE_PGM_RSRC2:TGID_Z_EN: 0
; COMPUTE_PGM_RSRC2:TIDIG_COMP_CNT: 0
	.section	.text._ZN9rocsparseL29bsrmmnt_small_blockdim_kernelILj64ELj64ELj2EiiffffEEv20rocsparse_direction_T3_S2_llNS_24const_host_device_scalarIT7_EEPKT2_PKS2_PKT4_PKT5_llS5_PT6_ll16rocsparse_order_21rocsparse_index_base_b,"axG",@progbits,_ZN9rocsparseL29bsrmmnt_small_blockdim_kernelILj64ELj64ELj2EiiffffEEv20rocsparse_direction_T3_S2_llNS_24const_host_device_scalarIT7_EEPKT2_PKS2_PKT4_PKT5_llS5_PT6_ll16rocsparse_order_21rocsparse_index_base_b,comdat
	.globl	_ZN9rocsparseL29bsrmmnt_small_blockdim_kernelILj64ELj64ELj2EiiffffEEv20rocsparse_direction_T3_S2_llNS_24const_host_device_scalarIT7_EEPKT2_PKS2_PKT4_PKT5_llS5_PT6_ll16rocsparse_order_21rocsparse_index_base_b ; -- Begin function _ZN9rocsparseL29bsrmmnt_small_blockdim_kernelILj64ELj64ELj2EiiffffEEv20rocsparse_direction_T3_S2_llNS_24const_host_device_scalarIT7_EEPKT2_PKS2_PKT4_PKT5_llS5_PT6_ll16rocsparse_order_21rocsparse_index_base_b
	.p2align	8
	.type	_ZN9rocsparseL29bsrmmnt_small_blockdim_kernelILj64ELj64ELj2EiiffffEEv20rocsparse_direction_T3_S2_llNS_24const_host_device_scalarIT7_EEPKT2_PKS2_PKT4_PKT5_llS5_PT6_ll16rocsparse_order_21rocsparse_index_base_b,@function
_ZN9rocsparseL29bsrmmnt_small_blockdim_kernelILj64ELj64ELj2EiiffffEEv20rocsparse_direction_T3_S2_llNS_24const_host_device_scalarIT7_EEPKT2_PKS2_PKT4_PKT5_llS5_PT6_ll16rocsparse_order_21rocsparse_index_base_b: ; @_ZN9rocsparseL29bsrmmnt_small_blockdim_kernelILj64ELj64ELj2EiiffffEEv20rocsparse_direction_T3_S2_llNS_24const_host_device_scalarIT7_EEPKT2_PKS2_PKT4_PKT5_llS5_PT6_ll16rocsparse_order_21rocsparse_index_base_b
; %bb.0:
	s_clause 0x2
	s_load_b128 s[16:19], s[0:1], 0x78
	s_load_b64 s[2:3], s[0:1], 0x20
	s_load_b64 s[24:25], s[0:1], 0x58
	s_waitcnt lgkmcnt(0)
	s_bitcmp1_b32 s18, 0
	s_cselect_b32 s4, -1, 0
	s_delay_alu instid0(SALU_CYCLE_1)
	s_and_b32 vcc_lo, exec_lo, s4
	s_xor_b32 s4, s4, -1
	s_cbranch_vccnz .LBB24_2
; %bb.1:
	s_load_b32 s2, s[2:3], 0x0
.LBB24_2:
	s_and_not1_b32 vcc_lo, exec_lo, s4
	s_cbranch_vccnz .LBB24_4
; %bb.3:
	s_load_b32 s24, s[24:25], 0x0
.LBB24_4:
	s_waitcnt lgkmcnt(0)
	v_cmp_eq_f32_e64 s3, s2, 0
	v_cmp_eq_f32_e64 s4, s24, 1.0
	s_delay_alu instid0(VALU_DEP_1) | instskip(NEXT) | instid1(SALU_CYCLE_1)
	s_and_b32 s3, s3, s4
	s_and_b32 vcc_lo, exec_lo, s3
	s_cbranch_vccnz .LBB24_30
; %bb.5:
	s_clause 0x1
	s_load_b32 s3, s[0:1], 0x94
	s_load_b128 s[20:23], s[0:1], 0x0
	s_waitcnt lgkmcnt(0)
	s_and_b32 s3, s3, 0xffff
	s_delay_alu instid0(SALU_CYCLE_1) | instskip(SKIP_1) | instid1(VALU_DEP_1)
	v_mad_u64_u32 v[1:2], null, s15, s3, v[0:1]
	s_mov_b32 s3, exec_lo
	v_lshrrev_b32_e32 v2, 7, v1
	s_delay_alu instid0(VALU_DEP_1)
	v_cmpx_gt_i32_e64 s21, v2
	s_cbranch_execz .LBB24_30
; %bb.6:
	s_cmp_lt_i32 s22, 1
	s_cbranch_scc1 .LBB24_30
; %bb.7:
	s_load_b256 s[4:11], s[0:1], 0x28
	v_lshlrev_b32_e32 v2, 2, v2
	s_load_b128 s[12:15], s[0:1], 0x60
	v_lshrrev_b32_e32 v8, 6, v1
	s_cmp_lg_u32 s16, 1
	v_bfe_u32 v1, v1, 6, 1
	s_cselect_b32 s16, -1, 0
	s_cmp_eq_u32 s20, 0
	v_mul_u32_u24_e32 v9, 3, v0
	v_lshlrev_b32_e32 v10, 2, v8
	v_cmp_neq_f32_e64 s3, s24, 0
	s_waitcnt lgkmcnt(0)
	global_load_b64 v[3:4], v2, s[4:5]
	s_load_b64 s[4:5], s[0:1], 0x48
	v_mad_u64_u32 v[5:6], null, v8, s14, 0
	s_cselect_b32 s1, -1, 0
	s_delay_alu instid0(SALU_CYCLE_1) | instskip(SKIP_1) | instid1(VALU_DEP_1)
	v_cndmask_b32_e64 v15, 0, 1, s1
	s_and_b32 s1, s1, exec_lo
	v_dual_mov_b32 v2, v6 :: v_dual_lshlrev_b32 v15, v15, v1
	s_waitcnt vmcnt(0)
	s_delay_alu instid0(VALU_DEP_1)
	v_mad_u64_u32 v[6:7], null, v8, s15, v[2:3]
	v_lshlrev_b32_e32 v8, 2, v9
	v_add_co_u32 v9, s0, s12, v10
	v_lshl_or_b32 v7, v0, 2, 0x300
	v_mov_b32_e32 v2, 0
	v_add_co_ci_u32_e64 v10, null, s13, 0, s0
	v_lshlrev_b64 v[5:6], 2, v[5:6]
	v_subrev_nc_u32_e32 v13, s17, v3
	v_subrev_nc_u32_e32 v14, s17, v4
	v_cmp_lt_i32_e64 s0, v3, v4
	s_delay_alu instid0(VALU_DEP_4)
	v_add_co_u32 v11, vcc_lo, s12, v5
	v_add_co_ci_u32_e32 v12, vcc_lo, s13, v6, vcc_lo
	s_mov_b32 s12, 0
	s_cselect_b32 s13, 1, 2
	s_branch .LBB24_9
.LBB24_8:                               ;   in Loop: Header=BB24_9 Depth=1
	s_or_b32 exec_lo, exec_lo, s1
	s_add_i32 s12, s12, 64
	s_delay_alu instid0(SALU_CYCLE_1)
	s_cmp_lt_i32 s12, s22
	s_cbranch_scc0 .LBB24_30
.LBB24_9:                               ; =>This Loop Header: Depth=1
                                        ;     Child Loop BB24_12 Depth 2
                                        ;       Child Loop BB24_16 Depth 3
	v_or_b32_e32 v3, s12, v0
	v_mov_b32_e32 v16, v2
	s_delay_alu instid0(VALU_DEP_2)
	v_ashrrev_i32_e32 v4, 31, v3
	s_and_saveexec_b32 s18, s0
	s_cbranch_execz .LBB24_18
; %bb.10:                               ;   in Loop: Header=BB24_9 Depth=1
	s_delay_alu instid0(VALU_DEP_1) | instskip(SKIP_3) | instid1(VALU_DEP_3)
	v_lshlrev_b64 v[5:6], 2, v[3:4]
	v_cmp_gt_i32_e32 vcc_lo, s22, v3
	v_dual_mov_b32 v16, 0 :: v_dual_mov_b32 v19, v13
	s_mov_b32 s19, 0
	v_add_co_u32 v17, s1, s10, v5
	s_delay_alu instid0(VALU_DEP_1)
	v_add_co_ci_u32_e64 v18, s1, s11, v6, s1
	s_branch .LBB24_12
.LBB24_11:                              ;   in Loop: Header=BB24_12 Depth=2
	s_or_b32 exec_lo, exec_lo, s20
	v_add_nc_u32_e32 v19, 64, v19
	s_delay_alu instid0(VALU_DEP_1) | instskip(NEXT) | instid1(VALU_DEP_1)
	v_cmp_ge_i32_e64 s1, v19, v14
	s_or_b32 s19, s1, s19
	s_delay_alu instid0(SALU_CYCLE_1)
	s_and_not1_b32 exec_lo, exec_lo, s19
	s_cbranch_execz .LBB24_17
.LBB24_12:                              ;   Parent Loop BB24_9 Depth=1
                                        ; =>  This Loop Header: Depth=2
                                        ;       Child Loop BB24_16 Depth 3
	v_dual_mov_b32 v6, 0 :: v_dual_add_nc_u32 v5, v19, v0
	v_dual_mov_b32 v1, 0 :: v_dual_mov_b32 v20, 0
	s_mov_b32 s20, exec_lo
	s_delay_alu instid0(VALU_DEP_2)
	v_cmpx_lt_i32_e64 v5, v14
	s_cbranch_execz .LBB24_14
; %bb.13:                               ;   in Loop: Header=BB24_12 Depth=2
	v_ashrrev_i32_e32 v6, 31, v5
	v_lshl_or_b32 v1, v5, 2, v15
	s_delay_alu instid0(VALU_DEP_2) | instskip(NEXT) | instid1(VALU_DEP_2)
	v_lshlrev_b64 v[5:6], 2, v[5:6]
	v_lshlrev_b64 v[20:21], 2, v[1:2]
	v_or_b32_e32 v1, s13, v1
	s_delay_alu instid0(VALU_DEP_3) | instskip(NEXT) | instid1(VALU_DEP_1)
	v_add_co_u32 v5, s1, s6, v5
	v_add_co_ci_u32_e64 v6, s1, s7, v6, s1
	s_delay_alu instid0(VALU_DEP_3) | instskip(SKIP_2) | instid1(VALU_DEP_1)
	v_lshlrev_b64 v[22:23], 2, v[1:2]
	global_load_b32 v24, v[5:6], off
	v_add_co_u32 v5, s1, s8, v20
	v_add_co_ci_u32_e64 v6, s1, s9, v21, s1
	v_add_co_u32 v20, s1, s8, v22
	s_delay_alu instid0(VALU_DEP_1)
	v_add_co_ci_u32_e64 v21, s1, s9, v23, s1
	s_clause 0x1
	global_load_b32 v1, v[5:6], off
	global_load_b32 v20, v[20:21], off
	s_waitcnt vmcnt(2)
	v_subrev_nc_u32_e32 v5, s17, v24
	s_delay_alu instid0(VALU_DEP_1)
	v_lshlrev_b32_e32 v6, 1, v5
.LBB24_14:                              ;   in Loop: Header=BB24_12 Depth=2
	s_or_b32 exec_lo, exec_lo, s20
	ds_store_b32 v7, v6
	s_waitcnt vmcnt(0)
	ds_store_2addr_b32 v8, v1, v20 offset1:1
	s_waitcnt lgkmcnt(0)
	s_waitcnt_vscnt null, 0x0
	s_barrier
	buffer_gl0_inv
	s_and_saveexec_b32 s20, vcc_lo
	s_cbranch_execz .LBB24_11
; %bb.15:                               ;   in Loop: Header=BB24_12 Depth=2
	v_mov_b32_e32 v1, 0
	s_mov_b32 s21, 0
.LBB24_16:                              ;   Parent Loop BB24_9 Depth=1
                                        ;     Parent Loop BB24_12 Depth=2
                                        ; =>    This Inner Loop Header: Depth=3
	s_delay_alu instid0(SALU_CYCLE_1) | instskip(SKIP_1) | instid1(SALU_CYCLE_1)
	v_add_nc_u32_e64 v5, 0x300, s21
	s_add_i32 s21, s21, 8
	s_cmpk_lg_i32 s21, 0x100
	ds_load_b64 v[5:6], v5
	s_waitcnt lgkmcnt(0)
	v_ashrrev_i32_e32 v24, 31, v5
	v_mul_lo_u32 v26, v5, s5
	v_mad_u64_u32 v[20:21], null, v5, s4, 0
	v_add_nc_u32_e32 v29, 1, v6
	s_delay_alu instid0(VALU_DEP_4)
	v_mul_lo_u32 v30, v24, s4
	v_ashrrev_i32_e32 v27, 31, v6
	v_mul_lo_u32 v28, v6, s5
	v_mad_u64_u32 v[22:23], null, v6, s4, 0
	v_ashrrev_i32_e32 v33, 31, v29
	v_mul_lo_u32 v34, v29, s5
	v_mul_lo_u32 v27, v27, s4
	v_add3_u32 v21, v21, v26, v30
	s_delay_alu instid0(VALU_DEP_1) | instskip(NEXT) | instid1(VALU_DEP_3)
	v_lshlrev_b64 v[20:21], 2, v[20:21]
	v_add3_u32 v23, v23, v28, v27
	s_delay_alu instid0(VALU_DEP_2) | instskip(NEXT) | instid1(VALU_DEP_1)
	v_add_co_u32 v20, s1, v17, v20
	v_add_co_ci_u32_e64 v21, s1, v18, v21, s1
	s_delay_alu instid0(VALU_DEP_3) | instskip(SKIP_2) | instid1(VALU_DEP_1)
	v_lshlrev_b64 v[22:23], 2, v[22:23]
	global_load_b32 v26, v[20:21], off
	v_add_nc_u32_e32 v25, 1, v5
	v_ashrrev_i32_e32 v31, 31, v25
	v_mul_lo_u32 v32, v25, s5
	v_mad_u64_u32 v[5:6], null, v25, s4, 0
	v_mad_u64_u32 v[24:25], null, v29, s4, 0
	s_delay_alu instid0(VALU_DEP_4) | instskip(SKIP_1) | instid1(VALU_DEP_2)
	v_mul_lo_u32 v29, v31, s4
	v_mul_lo_u32 v31, v33, s4
	v_add3_u32 v6, v6, v32, v29
	s_delay_alu instid0(VALU_DEP_2) | instskip(NEXT) | instid1(VALU_DEP_2)
	v_add3_u32 v25, v25, v34, v31
	v_lshlrev_b64 v[5:6], 2, v[5:6]
	s_delay_alu instid0(VALU_DEP_2) | instskip(NEXT) | instid1(VALU_DEP_2)
	v_lshlrev_b64 v[24:25], 2, v[24:25]
	v_add_co_u32 v5, s1, v17, v5
	s_delay_alu instid0(VALU_DEP_1) | instskip(SKIP_1) | instid1(VALU_DEP_1)
	v_add_co_ci_u32_e64 v6, s1, v18, v6, s1
	v_add_co_u32 v20, s1, v17, v22
	v_add_co_ci_u32_e64 v21, s1, v18, v23, s1
	global_load_b32 v22, v[5:6], off
	v_add_co_u32 v5, s1, v17, v24
	s_delay_alu instid0(VALU_DEP_1)
	v_add_co_ci_u32_e64 v6, s1, v18, v25, s1
	s_clause 0x1
	global_load_b32 v23, v[20:21], off
	global_load_b32 v24, v[5:6], off
	ds_load_b64 v[5:6], v1
	ds_load_2addr_b32 v[20:21], v1 offset0:3 offset1:4
	s_waitcnt vmcnt(3) lgkmcnt(1)
	v_dual_fmac_f32 v16, v5, v26 :: v_dual_add_nc_u32 v1, 24, v1
	s_waitcnt vmcnt(2)
	s_delay_alu instid0(VALU_DEP_1) | instskip(SKIP_1) | instid1(VALU_DEP_1)
	v_fmac_f32_e32 v16, v6, v22
	s_waitcnt vmcnt(1) lgkmcnt(0)
	v_fmac_f32_e32 v16, v20, v23
	s_waitcnt vmcnt(0)
	s_delay_alu instid0(VALU_DEP_1)
	v_fmac_f32_e32 v16, v21, v24
	s_cbranch_scc1 .LBB24_16
	s_branch .LBB24_11
.LBB24_17:                              ;   in Loop: Header=BB24_9 Depth=1
	s_or_b32 exec_lo, exec_lo, s19
.LBB24_18:                              ;   in Loop: Header=BB24_9 Depth=1
	s_delay_alu instid0(SALU_CYCLE_1) | instskip(NEXT) | instid1(SALU_CYCLE_1)
	s_or_b32 exec_lo, exec_lo, s18
	s_mov_b32 s1, exec_lo
	v_cmpx_gt_i32_e64 s22, v3
	s_cbranch_execz .LBB24_8
; %bb.19:                               ;   in Loop: Header=BB24_9 Depth=1
	s_and_b32 vcc_lo, exec_lo, s3
	s_cbranch_vccz .LBB24_25
; %bb.20:                               ;   in Loop: Header=BB24_9 Depth=1
	s_and_b32 vcc_lo, exec_lo, s16
	s_mov_b32 s18, -1
	s_cbranch_vccz .LBB24_22
; %bb.21:                               ;   in Loop: Header=BB24_9 Depth=1
	v_lshlrev_b64 v[5:6], 2, v[3:4]
	v_mul_f32_e32 v17, s2, v16
	s_mov_b32 s18, 0
	s_delay_alu instid0(VALU_DEP_2) | instskip(NEXT) | instid1(VALU_DEP_3)
	v_add_co_u32 v5, vcc_lo, v11, v5
	v_add_co_ci_u32_e32 v6, vcc_lo, v12, v6, vcc_lo
	global_load_b32 v1, v[5:6], off
	s_waitcnt vmcnt(0)
	v_fmac_f32_e32 v17, s24, v1
	global_store_b32 v[5:6], v17, off
.LBB24_22:                              ;   in Loop: Header=BB24_9 Depth=1
	s_and_not1_b32 vcc_lo, exec_lo, s18
	s_cbranch_vccnz .LBB24_24
; %bb.23:                               ;   in Loop: Header=BB24_9 Depth=1
	v_mul_lo_u32 v1, v4, s14
	v_mul_lo_u32 v17, v3, s15
	v_mad_u64_u32 v[5:6], null, v3, s14, 0
	s_delay_alu instid0(VALU_DEP_1) | instskip(SKIP_1) | instid1(VALU_DEP_2)
	v_add3_u32 v6, v6, v17, v1
	v_mul_f32_e32 v17, s2, v16
	v_lshlrev_b64 v[5:6], 2, v[5:6]
	s_delay_alu instid0(VALU_DEP_1) | instskip(NEXT) | instid1(VALU_DEP_2)
	v_add_co_u32 v5, vcc_lo, v9, v5
	v_add_co_ci_u32_e32 v6, vcc_lo, v10, v6, vcc_lo
	global_load_b32 v1, v[5:6], off
	s_waitcnt vmcnt(0)
	v_fmac_f32_e32 v17, s24, v1
	global_store_b32 v[5:6], v17, off
.LBB24_24:                              ;   in Loop: Header=BB24_9 Depth=1
	s_cbranch_execnz .LBB24_8
	s_branch .LBB24_26
.LBB24_25:                              ;   in Loop: Header=BB24_9 Depth=1
.LBB24_26:                              ;   in Loop: Header=BB24_9 Depth=1
	v_mul_f32_e32 v1, s2, v16
	s_and_b32 vcc_lo, exec_lo, s16
	s_mov_b32 s18, -1
	s_cbranch_vccz .LBB24_28
; %bb.27:                               ;   in Loop: Header=BB24_9 Depth=1
	v_lshlrev_b64 v[5:6], 2, v[3:4]
	s_mov_b32 s18, 0
	s_delay_alu instid0(VALU_DEP_1) | instskip(NEXT) | instid1(VALU_DEP_2)
	v_add_co_u32 v5, vcc_lo, v11, v5
	v_add_co_ci_u32_e32 v6, vcc_lo, v12, v6, vcc_lo
	global_store_b32 v[5:6], v1, off
.LBB24_28:                              ;   in Loop: Header=BB24_9 Depth=1
	s_and_not1_b32 vcc_lo, exec_lo, s18
	s_cbranch_vccnz .LBB24_8
; %bb.29:                               ;   in Loop: Header=BB24_9 Depth=1
	v_mul_lo_u32 v6, v4, s14
	v_mul_lo_u32 v16, v3, s15
	v_mad_u64_u32 v[4:5], null, v3, s14, 0
	s_delay_alu instid0(VALU_DEP_1) | instskip(NEXT) | instid1(VALU_DEP_1)
	v_add3_u32 v5, v5, v16, v6
	v_lshlrev_b64 v[3:4], 2, v[4:5]
	s_delay_alu instid0(VALU_DEP_1) | instskip(NEXT) | instid1(VALU_DEP_2)
	v_add_co_u32 v3, vcc_lo, v9, v3
	v_add_co_ci_u32_e32 v4, vcc_lo, v10, v4, vcc_lo
	global_store_b32 v[3:4], v1, off
	s_branch .LBB24_8
.LBB24_30:
	s_nop 0
	s_sendmsg sendmsg(MSG_DEALLOC_VGPRS)
	s_endpgm
	.section	.rodata,"a",@progbits
	.p2align	6, 0x0
	.amdhsa_kernel _ZN9rocsparseL29bsrmmnt_small_blockdim_kernelILj64ELj64ELj2EiiffffEEv20rocsparse_direction_T3_S2_llNS_24const_host_device_scalarIT7_EEPKT2_PKS2_PKT4_PKT5_llS5_PT6_ll16rocsparse_order_21rocsparse_index_base_b
		.amdhsa_group_segment_fixed_size 1024
		.amdhsa_private_segment_fixed_size 0
		.amdhsa_kernarg_size 392
		.amdhsa_user_sgpr_count 15
		.amdhsa_user_sgpr_dispatch_ptr 0
		.amdhsa_user_sgpr_queue_ptr 0
		.amdhsa_user_sgpr_kernarg_segment_ptr 1
		.amdhsa_user_sgpr_dispatch_id 0
		.amdhsa_user_sgpr_private_segment_size 0
		.amdhsa_wavefront_size32 1
		.amdhsa_uses_dynamic_stack 0
		.amdhsa_enable_private_segment 0
		.amdhsa_system_sgpr_workgroup_id_x 1
		.amdhsa_system_sgpr_workgroup_id_y 0
		.amdhsa_system_sgpr_workgroup_id_z 0
		.amdhsa_system_sgpr_workgroup_info 0
		.amdhsa_system_vgpr_workitem_id 0
		.amdhsa_next_free_vgpr 35
		.amdhsa_next_free_sgpr 26
		.amdhsa_reserve_vcc 1
		.amdhsa_float_round_mode_32 0
		.amdhsa_float_round_mode_16_64 0
		.amdhsa_float_denorm_mode_32 3
		.amdhsa_float_denorm_mode_16_64 3
		.amdhsa_dx10_clamp 1
		.amdhsa_ieee_mode 1
		.amdhsa_fp16_overflow 0
		.amdhsa_workgroup_processor_mode 1
		.amdhsa_memory_ordered 1
		.amdhsa_forward_progress 0
		.amdhsa_shared_vgpr_count 0
		.amdhsa_exception_fp_ieee_invalid_op 0
		.amdhsa_exception_fp_denorm_src 0
		.amdhsa_exception_fp_ieee_div_zero 0
		.amdhsa_exception_fp_ieee_overflow 0
		.amdhsa_exception_fp_ieee_underflow 0
		.amdhsa_exception_fp_ieee_inexact 0
		.amdhsa_exception_int_div_zero 0
	.end_amdhsa_kernel
	.section	.text._ZN9rocsparseL29bsrmmnt_small_blockdim_kernelILj64ELj64ELj2EiiffffEEv20rocsparse_direction_T3_S2_llNS_24const_host_device_scalarIT7_EEPKT2_PKS2_PKT4_PKT5_llS5_PT6_ll16rocsparse_order_21rocsparse_index_base_b,"axG",@progbits,_ZN9rocsparseL29bsrmmnt_small_blockdim_kernelILj64ELj64ELj2EiiffffEEv20rocsparse_direction_T3_S2_llNS_24const_host_device_scalarIT7_EEPKT2_PKS2_PKT4_PKT5_llS5_PT6_ll16rocsparse_order_21rocsparse_index_base_b,comdat
.Lfunc_end24:
	.size	_ZN9rocsparseL29bsrmmnt_small_blockdim_kernelILj64ELj64ELj2EiiffffEEv20rocsparse_direction_T3_S2_llNS_24const_host_device_scalarIT7_EEPKT2_PKS2_PKT4_PKT5_llS5_PT6_ll16rocsparse_order_21rocsparse_index_base_b, .Lfunc_end24-_ZN9rocsparseL29bsrmmnt_small_blockdim_kernelILj64ELj64ELj2EiiffffEEv20rocsparse_direction_T3_S2_llNS_24const_host_device_scalarIT7_EEPKT2_PKS2_PKT4_PKT5_llS5_PT6_ll16rocsparse_order_21rocsparse_index_base_b
                                        ; -- End function
	.section	.AMDGPU.csdata,"",@progbits
; Kernel info:
; codeLenInByte = 1564
; NumSgprs: 28
; NumVgprs: 35
; ScratchSize: 0
; MemoryBound: 0
; FloatMode: 240
; IeeeMode: 1
; LDSByteSize: 1024 bytes/workgroup (compile time only)
; SGPRBlocks: 3
; VGPRBlocks: 4
; NumSGPRsForWavesPerEU: 28
; NumVGPRsForWavesPerEU: 35
; Occupancy: 16
; WaveLimiterHint : 0
; COMPUTE_PGM_RSRC2:SCRATCH_EN: 0
; COMPUTE_PGM_RSRC2:USER_SGPR: 15
; COMPUTE_PGM_RSRC2:TRAP_HANDLER: 0
; COMPUTE_PGM_RSRC2:TGID_X_EN: 1
; COMPUTE_PGM_RSRC2:TGID_Y_EN: 0
; COMPUTE_PGM_RSRC2:TGID_Z_EN: 0
; COMPUTE_PGM_RSRC2:TIDIG_COMP_CNT: 0
	.section	.text._ZN9rocsparseL29bsrmmnt_small_blockdim_kernelILj64ELj8ELj2EliffffEEv20rocsparse_direction_T3_S2_llNS_24const_host_device_scalarIT7_EEPKT2_PKS2_PKT4_PKT5_llS5_PT6_ll16rocsparse_order_21rocsparse_index_base_b,"axG",@progbits,_ZN9rocsparseL29bsrmmnt_small_blockdim_kernelILj64ELj8ELj2EliffffEEv20rocsparse_direction_T3_S2_llNS_24const_host_device_scalarIT7_EEPKT2_PKS2_PKT4_PKT5_llS5_PT6_ll16rocsparse_order_21rocsparse_index_base_b,comdat
	.globl	_ZN9rocsparseL29bsrmmnt_small_blockdim_kernelILj64ELj8ELj2EliffffEEv20rocsparse_direction_T3_S2_llNS_24const_host_device_scalarIT7_EEPKT2_PKS2_PKT4_PKT5_llS5_PT6_ll16rocsparse_order_21rocsparse_index_base_b ; -- Begin function _ZN9rocsparseL29bsrmmnt_small_blockdim_kernelILj64ELj8ELj2EliffffEEv20rocsparse_direction_T3_S2_llNS_24const_host_device_scalarIT7_EEPKT2_PKS2_PKT4_PKT5_llS5_PT6_ll16rocsparse_order_21rocsparse_index_base_b
	.p2align	8
	.type	_ZN9rocsparseL29bsrmmnt_small_blockdim_kernelILj64ELj8ELj2EliffffEEv20rocsparse_direction_T3_S2_llNS_24const_host_device_scalarIT7_EEPKT2_PKS2_PKT4_PKT5_llS5_PT6_ll16rocsparse_order_21rocsparse_index_base_b,@function
_ZN9rocsparseL29bsrmmnt_small_blockdim_kernelILj64ELj8ELj2EliffffEEv20rocsparse_direction_T3_S2_llNS_24const_host_device_scalarIT7_EEPKT2_PKS2_PKT4_PKT5_llS5_PT6_ll16rocsparse_order_21rocsparse_index_base_b: ; @_ZN9rocsparseL29bsrmmnt_small_blockdim_kernelILj64ELj8ELj2EliffffEEv20rocsparse_direction_T3_S2_llNS_24const_host_device_scalarIT7_EEPKT2_PKS2_PKT4_PKT5_llS5_PT6_ll16rocsparse_order_21rocsparse_index_base_b
; %bb.0:
	s_clause 0x2
	s_load_b128 s[16:19], s[0:1], 0x78
	s_load_b64 s[2:3], s[0:1], 0x20
	s_load_b64 s[24:25], s[0:1], 0x58
	s_waitcnt lgkmcnt(0)
	s_bitcmp1_b32 s18, 0
	s_cselect_b32 s4, -1, 0
	s_delay_alu instid0(SALU_CYCLE_1)
	s_and_b32 vcc_lo, exec_lo, s4
	s_xor_b32 s4, s4, -1
	s_cbranch_vccnz .LBB25_2
; %bb.1:
	s_load_b32 s2, s[2:3], 0x0
.LBB25_2:
	s_and_not1_b32 vcc_lo, exec_lo, s4
	s_cbranch_vccnz .LBB25_4
; %bb.3:
	s_load_b32 s24, s[24:25], 0x0
.LBB25_4:
	s_waitcnt lgkmcnt(0)
	v_cmp_eq_f32_e64 s3, s2, 0
	v_cmp_eq_f32_e64 s4, s24, 1.0
	s_delay_alu instid0(VALU_DEP_1) | instskip(NEXT) | instid1(SALU_CYCLE_1)
	s_and_b32 s3, s3, s4
	s_and_b32 vcc_lo, exec_lo, s3
	s_cbranch_vccnz .LBB25_30
; %bb.5:
	s_clause 0x1
	s_load_b32 s3, s[0:1], 0x94
	s_load_b128 s[20:23], s[0:1], 0x0
	s_waitcnt lgkmcnt(0)
	s_and_b32 s3, s3, 0xffff
	s_delay_alu instid0(SALU_CYCLE_1) | instskip(SKIP_1) | instid1(VALU_DEP_1)
	v_mad_u64_u32 v[1:2], null, s15, s3, v[0:1]
	s_mov_b32 s3, exec_lo
	v_lshrrev_b32_e32 v2, 4, v1
	s_delay_alu instid0(VALU_DEP_1)
	v_cmpx_gt_i32_e64 s21, v2
	s_cbranch_execz .LBB25_30
; %bb.6:
	s_cmp_lt_i32 s22, 1
	s_cbranch_scc1 .LBB25_30
; %bb.7:
	s_load_b256 s[4:11], s[0:1], 0x28
	v_lshlrev_b32_e32 v2, 3, v2
	s_load_b128 s[12:15], s[0:1], 0x60
	v_lshrrev_b32_e32 v13, 3, v1
	v_and_b32_e32 v10, 7, v0
	v_bfe_u32 v19, v1, 3, 1
	s_cmp_lg_u32 s16, 1
	v_cmp_neq_f32_e64 s3, s24, 0
	s_cselect_b32 s16, -1, 0
	s_cmp_eq_u32 s20, 0
	v_lshlrev_b32_e32 v17, 2, v13
	s_waitcnt lgkmcnt(0)
	global_load_b128 v[4:7], v2, s[4:5]
	s_load_b64 s[4:5], s[0:1], 0x48
	v_mad_u64_u32 v[2:3], null, v13, s14, 0
	s_cselect_b32 s1, -1, 0
	s_waitcnt vmcnt(0)
	s_delay_alu instid0(VALU_DEP_1) | instskip(SKIP_3) | instid1(VALU_DEP_3)
	v_mad_u64_u32 v[8:9], null, v13, s15, v[3:4]
	v_lshrrev_b32_e32 v9, 3, v0
	v_mul_u32_u24_e32 v0, 3, v10
	v_cmp_lt_i64_e64 s0, v[4:5], v[6:7]
	v_lshl_or_b32 v11, v9, 5, 0x300
	s_delay_alu instid0(VALU_DEP_3) | instskip(SKIP_2) | instid1(VALU_DEP_4)
	v_dual_mov_b32 v3, v8 :: v_dual_lshlrev_b32 v14, 2, v0
	v_cndmask_b32_e64 v8, 0, 1, s1
	v_mul_u32_u24_e32 v12, 0x60, v9
	v_lshl_or_b32 v13, v10, 2, v11
	s_delay_alu instid0(VALU_DEP_4) | instskip(SKIP_3) | instid1(VALU_DEP_3)
	v_lshlrev_b64 v[0:1], 2, v[2:3]
	v_mad_u32_u24 v14, 0x60, v9, v14
	v_lshlrev_b32_e32 v19, v8, v19
	s_and_b32 s1, s1, exec_lo
	v_add_co_u32 v15, vcc_lo, s12, v0
	s_delay_alu instid0(VALU_DEP_4)
	v_add_co_ci_u32_e32 v16, vcc_lo, s13, v1, vcc_lo
	v_sub_co_u32 v0, vcc_lo, v4, s17
	v_subrev_co_ci_u32_e32 v1, vcc_lo, 0, v5, vcc_lo
	v_sub_co_u32 v2, vcc_lo, v6, s17
	v_add_co_u32 v17, s12, s12, v17
	v_subrev_co_ci_u32_e32 v3, vcc_lo, 0, v7, vcc_lo
	v_add_co_ci_u32_e64 v18, null, s13, 0, s12
	s_mov_b32 s12, 0
	s_cselect_b32 s13, 1, 2
	s_branch .LBB25_9
.LBB25_8:                               ;   in Loop: Header=BB25_9 Depth=1
	s_or_b32 exec_lo, exec_lo, s1
	s_add_i32 s12, s12, 8
	s_delay_alu instid0(SALU_CYCLE_1)
	s_cmp_lt_i32 s12, s22
	s_cbranch_scc0 .LBB25_30
.LBB25_9:                               ; =>This Loop Header: Depth=1
                                        ;     Child Loop BB25_12 Depth 2
                                        ;       Child Loop BB25_16 Depth 3
	v_or_b32_e32 v4, s12, v10
	v_mov_b32_e32 v20, 0
	s_delay_alu instid0(VALU_DEP_2)
	v_ashrrev_i32_e32 v5, 31, v4
	s_and_saveexec_b32 s18, s0
	s_cbranch_execz .LBB25_18
; %bb.10:                               ;   in Loop: Header=BB25_9 Depth=1
	s_delay_alu instid0(VALU_DEP_1) | instskip(SKIP_3) | instid1(VALU_DEP_3)
	v_lshlrev_b64 v[6:7], 2, v[4:5]
	v_mov_b32_e32 v20, 0
	v_cmp_gt_i32_e32 vcc_lo, s22, v4
	s_mov_b32 s19, 0
	v_add_co_u32 v21, s1, s10, v6
	s_delay_alu instid0(VALU_DEP_1)
	v_add_co_ci_u32_e64 v22, s1, s11, v7, s1
	v_dual_mov_b32 v7, v1 :: v_dual_mov_b32 v6, v0
	s_branch .LBB25_12
.LBB25_11:                              ;   in Loop: Header=BB25_12 Depth=2
	s_or_b32 exec_lo, exec_lo, s20
	v_add_co_u32 v6, s1, v6, 8
	s_delay_alu instid0(VALU_DEP_1) | instskip(NEXT) | instid1(VALU_DEP_1)
	v_add_co_ci_u32_e64 v7, s1, 0, v7, s1
	v_cmp_ge_i64_e64 s1, v[6:7], v[2:3]
	s_delay_alu instid0(VALU_DEP_1) | instskip(NEXT) | instid1(SALU_CYCLE_1)
	s_or_b32 s19, s1, s19
	s_and_not1_b32 exec_lo, exec_lo, s19
	s_cbranch_execz .LBB25_17
.LBB25_12:                              ;   Parent Loop BB25_9 Depth=1
                                        ; =>  This Loop Header: Depth=2
                                        ;       Child Loop BB25_16 Depth 3
	s_delay_alu instid0(VALU_DEP_1) | instskip(NEXT) | instid1(VALU_DEP_1)
	v_add_co_u32 v8, s1, v6, v10
	v_add_co_ci_u32_e64 v9, s1, 0, v7, s1
	v_dual_mov_b32 v24, 0 :: v_dual_mov_b32 v23, 0
	v_mov_b32_e32 v25, 0
	s_mov_b32 s20, exec_lo
	s_delay_alu instid0(VALU_DEP_3)
	v_cmpx_lt_i64_e64 v[8:9], v[2:3]
	s_cbranch_execz .LBB25_14
; %bb.13:                               ;   in Loop: Header=BB25_12 Depth=2
	v_lshlrev_b64 v[8:9], 2, v[8:9]
	s_delay_alu instid0(VALU_DEP_1) | instskip(NEXT) | instid1(VALU_DEP_2)
	v_or_b32_e32 v24, 0, v9
	v_or_b32_e32 v23, v8, v19
	v_add_co_u32 v8, s1, s6, v8
	s_delay_alu instid0(VALU_DEP_1) | instskip(NEXT) | instid1(VALU_DEP_4)
	v_add_co_ci_u32_e64 v9, s1, s7, v9, s1
	v_or_b32_e32 v26, 0, v24
	s_delay_alu instid0(VALU_DEP_4) | instskip(SKIP_4) | instid1(VALU_DEP_1)
	v_or_b32_e32 v25, s13, v23
	v_lshlrev_b64 v[23:24], 2, v[23:24]
	global_load_b32 v27, v[8:9], off
	v_lshlrev_b64 v[8:9], 2, v[25:26]
	v_add_co_u32 v23, s1, s8, v23
	v_add_co_ci_u32_e64 v24, s1, s9, v24, s1
	s_delay_alu instid0(VALU_DEP_3) | instskip(NEXT) | instid1(VALU_DEP_1)
	v_add_co_u32 v8, s1, s8, v8
	v_add_co_ci_u32_e64 v9, s1, s9, v9, s1
	s_clause 0x1
	global_load_b32 v23, v[23:24], off
	global_load_b32 v25, v[8:9], off
	s_waitcnt vmcnt(2)
	v_subrev_nc_u32_e32 v8, s17, v27
	s_delay_alu instid0(VALU_DEP_1)
	v_lshlrev_b32_e32 v24, 1, v8
.LBB25_14:                              ;   in Loop: Header=BB25_12 Depth=2
	s_or_b32 exec_lo, exec_lo, s20
	ds_store_b32 v13, v24
	s_waitcnt vmcnt(0)
	ds_store_2addr_b32 v14, v23, v25 offset1:1
	s_waitcnt lgkmcnt(0)
	s_waitcnt_vscnt null, 0x0
	s_barrier
	buffer_gl0_inv
	s_and_saveexec_b32 s20, vcc_lo
	s_cbranch_execz .LBB25_11
; %bb.15:                               ;   in Loop: Header=BB25_12 Depth=2
	v_mov_b32_e32 v8, v12
	s_mov_b32 s21, 0
.LBB25_16:                              ;   Parent Loop BB25_9 Depth=1
                                        ;     Parent Loop BB25_12 Depth=2
                                        ; =>    This Inner Loop Header: Depth=3
	s_delay_alu instid0(SALU_CYCLE_1) | instskip(SKIP_1) | instid1(SALU_CYCLE_1)
	v_add_nc_u32_e32 v9, s21, v11
	s_add_i32 s21, s21, 8
	s_cmp_lg_u32 s21, 32
	ds_load_b64 v[23:24], v9
	s_waitcnt lgkmcnt(0)
	v_ashrrev_i32_e32 v9, 31, v23
	v_mul_lo_u32 v31, v23, s5
	v_mad_u64_u32 v[25:26], null, v23, s4, 0
	v_ashrrev_i32_e32 v30, 31, v24
	s_delay_alu instid0(VALU_DEP_4) | instskip(SKIP_4) | instid1(VALU_DEP_4)
	v_mul_lo_u32 v9, v9, s4
	v_add_nc_u32_e32 v33, 1, v24
	v_mul_lo_u32 v32, v24, s5
	v_mad_u64_u32 v[27:28], null, v24, s4, 0
	v_mul_lo_u32 v36, v30, s4
	v_ashrrev_i32_e32 v37, 31, v33
	v_mul_lo_u32 v38, v33, s5
	v_add3_u32 v26, v26, v31, v9
	s_delay_alu instid0(VALU_DEP_4) | instskip(NEXT) | instid1(VALU_DEP_2)
	v_add3_u32 v28, v28, v32, v36
	v_lshlrev_b64 v[25:26], 2, v[25:26]
	s_delay_alu instid0(VALU_DEP_2) | instskip(NEXT) | instid1(VALU_DEP_2)
	v_lshlrev_b64 v[27:28], 2, v[27:28]
	v_add_co_u32 v25, s1, v21, v25
	s_delay_alu instid0(VALU_DEP_1) | instskip(SKIP_2) | instid1(VALU_DEP_1)
	v_add_co_ci_u32_e64 v26, s1, v22, v26, s1
	global_load_b32 v9, v[25:26], off
	v_add_nc_u32_e32 v29, 1, v23
	v_ashrrev_i32_e32 v34, 31, v29
	v_mul_lo_u32 v35, v29, s5
	v_mad_u64_u32 v[23:24], null, v29, s4, 0
	v_mad_u64_u32 v[29:30], null, v33, s4, 0
	s_delay_alu instid0(VALU_DEP_4) | instskip(SKIP_1) | instid1(VALU_DEP_2)
	v_mul_lo_u32 v33, v34, s4
	v_mul_lo_u32 v34, v37, s4
	v_add3_u32 v24, v24, v35, v33
	s_delay_alu instid0(VALU_DEP_2) | instskip(NEXT) | instid1(VALU_DEP_2)
	v_add3_u32 v30, v30, v38, v34
	v_lshlrev_b64 v[23:24], 2, v[23:24]
	s_delay_alu instid0(VALU_DEP_2) | instskip(NEXT) | instid1(VALU_DEP_2)
	v_lshlrev_b64 v[29:30], 2, v[29:30]
	v_add_co_u32 v23, s1, v21, v23
	s_delay_alu instid0(VALU_DEP_1) | instskip(SKIP_1) | instid1(VALU_DEP_1)
	v_add_co_ci_u32_e64 v24, s1, v22, v24, s1
	v_add_co_u32 v25, s1, v21, v27
	v_add_co_ci_u32_e64 v26, s1, v22, v28, s1
	global_load_b32 v27, v[23:24], off
	v_add_co_u32 v23, s1, v21, v29
	s_delay_alu instid0(VALU_DEP_1)
	v_add_co_ci_u32_e64 v24, s1, v22, v30, s1
	s_clause 0x1
	global_load_b32 v28, v[25:26], off
	global_load_b32 v29, v[23:24], off
	ds_load_b64 v[23:24], v8
	ds_load_2addr_b32 v[25:26], v8 offset0:3 offset1:4
	v_add_nc_u32_e32 v8, 24, v8
	s_waitcnt vmcnt(3) lgkmcnt(1)
	v_fmac_f32_e32 v20, v23, v9
	s_waitcnt vmcnt(2)
	s_delay_alu instid0(VALU_DEP_1) | instskip(SKIP_1) | instid1(VALU_DEP_1)
	v_fmac_f32_e32 v20, v24, v27
	s_waitcnt vmcnt(1) lgkmcnt(0)
	v_fmac_f32_e32 v20, v25, v28
	s_waitcnt vmcnt(0)
	s_delay_alu instid0(VALU_DEP_1)
	v_fmac_f32_e32 v20, v26, v29
	s_cbranch_scc1 .LBB25_16
	s_branch .LBB25_11
.LBB25_17:                              ;   in Loop: Header=BB25_9 Depth=1
	s_or_b32 exec_lo, exec_lo, s19
.LBB25_18:                              ;   in Loop: Header=BB25_9 Depth=1
	s_delay_alu instid0(SALU_CYCLE_1) | instskip(NEXT) | instid1(SALU_CYCLE_1)
	s_or_b32 exec_lo, exec_lo, s18
	s_mov_b32 s1, exec_lo
	v_cmpx_gt_i32_e64 s22, v4
	s_cbranch_execz .LBB25_8
; %bb.19:                               ;   in Loop: Header=BB25_9 Depth=1
	s_and_b32 vcc_lo, exec_lo, s3
	s_cbranch_vccz .LBB25_25
; %bb.20:                               ;   in Loop: Header=BB25_9 Depth=1
	s_and_b32 vcc_lo, exec_lo, s16
	s_mov_b32 s18, -1
	s_cbranch_vccz .LBB25_22
; %bb.21:                               ;   in Loop: Header=BB25_9 Depth=1
	v_lshlrev_b64 v[6:7], 2, v[4:5]
	v_mul_f32_e32 v9, s2, v20
	s_mov_b32 s18, 0
	s_delay_alu instid0(VALU_DEP_2) | instskip(NEXT) | instid1(VALU_DEP_3)
	v_add_co_u32 v6, vcc_lo, v15, v6
	v_add_co_ci_u32_e32 v7, vcc_lo, v16, v7, vcc_lo
	global_load_b32 v8, v[6:7], off
	s_waitcnt vmcnt(0)
	v_fmac_f32_e32 v9, s24, v8
	global_store_b32 v[6:7], v9, off
.LBB25_22:                              ;   in Loop: Header=BB25_9 Depth=1
	s_and_not1_b32 vcc_lo, exec_lo, s18
	s_cbranch_vccnz .LBB25_24
; %bb.23:                               ;   in Loop: Header=BB25_9 Depth=1
	v_mul_lo_u32 v8, v5, s14
	v_mul_lo_u32 v9, v4, s15
	v_mad_u64_u32 v[6:7], null, v4, s14, 0
	s_delay_alu instid0(VALU_DEP_1) | instskip(SKIP_1) | instid1(VALU_DEP_2)
	v_add3_u32 v7, v7, v9, v8
	v_mul_f32_e32 v9, s2, v20
	v_lshlrev_b64 v[6:7], 2, v[6:7]
	s_delay_alu instid0(VALU_DEP_1) | instskip(NEXT) | instid1(VALU_DEP_2)
	v_add_co_u32 v6, vcc_lo, v17, v6
	v_add_co_ci_u32_e32 v7, vcc_lo, v18, v7, vcc_lo
	global_load_b32 v8, v[6:7], off
	s_waitcnt vmcnt(0)
	v_fmac_f32_e32 v9, s24, v8
	global_store_b32 v[6:7], v9, off
.LBB25_24:                              ;   in Loop: Header=BB25_9 Depth=1
	s_cbranch_execnz .LBB25_8
	s_branch .LBB25_26
.LBB25_25:                              ;   in Loop: Header=BB25_9 Depth=1
.LBB25_26:                              ;   in Loop: Header=BB25_9 Depth=1
	v_mul_f32_e32 v6, s2, v20
	s_and_b32 vcc_lo, exec_lo, s16
	s_mov_b32 s18, -1
	s_cbranch_vccz .LBB25_28
; %bb.27:                               ;   in Loop: Header=BB25_9 Depth=1
	v_lshlrev_b64 v[7:8], 2, v[4:5]
	s_mov_b32 s18, 0
	s_delay_alu instid0(VALU_DEP_1) | instskip(NEXT) | instid1(VALU_DEP_2)
	v_add_co_u32 v7, vcc_lo, v15, v7
	v_add_co_ci_u32_e32 v8, vcc_lo, v16, v8, vcc_lo
	global_store_b32 v[7:8], v6, off
.LBB25_28:                              ;   in Loop: Header=BB25_9 Depth=1
	s_and_not1_b32 vcc_lo, exec_lo, s18
	s_cbranch_vccnz .LBB25_8
; %bb.29:                               ;   in Loop: Header=BB25_9 Depth=1
	v_mul_lo_u32 v5, v5, s14
	v_mul_lo_u32 v9, v4, s15
	v_mad_u64_u32 v[7:8], null, v4, s14, 0
	s_delay_alu instid0(VALU_DEP_1) | instskip(NEXT) | instid1(VALU_DEP_1)
	v_add3_u32 v8, v8, v9, v5
	v_lshlrev_b64 v[4:5], 2, v[7:8]
	s_delay_alu instid0(VALU_DEP_1) | instskip(NEXT) | instid1(VALU_DEP_2)
	v_add_co_u32 v4, vcc_lo, v17, v4
	v_add_co_ci_u32_e32 v5, vcc_lo, v18, v5, vcc_lo
	global_store_b32 v[4:5], v6, off
	s_branch .LBB25_8
.LBB25_30:
	s_nop 0
	s_sendmsg sendmsg(MSG_DEALLOC_VGPRS)
	s_endpgm
	.section	.rodata,"a",@progbits
	.p2align	6, 0x0
	.amdhsa_kernel _ZN9rocsparseL29bsrmmnt_small_blockdim_kernelILj64ELj8ELj2EliffffEEv20rocsparse_direction_T3_S2_llNS_24const_host_device_scalarIT7_EEPKT2_PKS2_PKT4_PKT5_llS5_PT6_ll16rocsparse_order_21rocsparse_index_base_b
		.amdhsa_group_segment_fixed_size 1024
		.amdhsa_private_segment_fixed_size 0
		.amdhsa_kernarg_size 392
		.amdhsa_user_sgpr_count 15
		.amdhsa_user_sgpr_dispatch_ptr 0
		.amdhsa_user_sgpr_queue_ptr 0
		.amdhsa_user_sgpr_kernarg_segment_ptr 1
		.amdhsa_user_sgpr_dispatch_id 0
		.amdhsa_user_sgpr_private_segment_size 0
		.amdhsa_wavefront_size32 1
		.amdhsa_uses_dynamic_stack 0
		.amdhsa_enable_private_segment 0
		.amdhsa_system_sgpr_workgroup_id_x 1
		.amdhsa_system_sgpr_workgroup_id_y 0
		.amdhsa_system_sgpr_workgroup_id_z 0
		.amdhsa_system_sgpr_workgroup_info 0
		.amdhsa_system_vgpr_workitem_id 0
		.amdhsa_next_free_vgpr 39
		.amdhsa_next_free_sgpr 26
		.amdhsa_reserve_vcc 1
		.amdhsa_float_round_mode_32 0
		.amdhsa_float_round_mode_16_64 0
		.amdhsa_float_denorm_mode_32 3
		.amdhsa_float_denorm_mode_16_64 3
		.amdhsa_dx10_clamp 1
		.amdhsa_ieee_mode 1
		.amdhsa_fp16_overflow 0
		.amdhsa_workgroup_processor_mode 1
		.amdhsa_memory_ordered 1
		.amdhsa_forward_progress 0
		.amdhsa_shared_vgpr_count 0
		.amdhsa_exception_fp_ieee_invalid_op 0
		.amdhsa_exception_fp_denorm_src 0
		.amdhsa_exception_fp_ieee_div_zero 0
		.amdhsa_exception_fp_ieee_overflow 0
		.amdhsa_exception_fp_ieee_underflow 0
		.amdhsa_exception_fp_ieee_inexact 0
		.amdhsa_exception_int_div_zero 0
	.end_amdhsa_kernel
	.section	.text._ZN9rocsparseL29bsrmmnt_small_blockdim_kernelILj64ELj8ELj2EliffffEEv20rocsparse_direction_T3_S2_llNS_24const_host_device_scalarIT7_EEPKT2_PKS2_PKT4_PKT5_llS5_PT6_ll16rocsparse_order_21rocsparse_index_base_b,"axG",@progbits,_ZN9rocsparseL29bsrmmnt_small_blockdim_kernelILj64ELj8ELj2EliffffEEv20rocsparse_direction_T3_S2_llNS_24const_host_device_scalarIT7_EEPKT2_PKS2_PKT4_PKT5_llS5_PT6_ll16rocsparse_order_21rocsparse_index_base_b,comdat
.Lfunc_end25:
	.size	_ZN9rocsparseL29bsrmmnt_small_blockdim_kernelILj64ELj8ELj2EliffffEEv20rocsparse_direction_T3_S2_llNS_24const_host_device_scalarIT7_EEPKT2_PKS2_PKT4_PKT5_llS5_PT6_ll16rocsparse_order_21rocsparse_index_base_b, .Lfunc_end25-_ZN9rocsparseL29bsrmmnt_small_blockdim_kernelILj64ELj8ELj2EliffffEEv20rocsparse_direction_T3_S2_llNS_24const_host_device_scalarIT7_EEPKT2_PKS2_PKT4_PKT5_llS5_PT6_ll16rocsparse_order_21rocsparse_index_base_b
                                        ; -- End function
	.section	.AMDGPU.csdata,"",@progbits
; Kernel info:
; codeLenInByte = 1640
; NumSgprs: 28
; NumVgprs: 39
; ScratchSize: 0
; MemoryBound: 0
; FloatMode: 240
; IeeeMode: 1
; LDSByteSize: 1024 bytes/workgroup (compile time only)
; SGPRBlocks: 3
; VGPRBlocks: 4
; NumSGPRsForWavesPerEU: 28
; NumVGPRsForWavesPerEU: 39
; Occupancy: 16
; WaveLimiterHint : 0
; COMPUTE_PGM_RSRC2:SCRATCH_EN: 0
; COMPUTE_PGM_RSRC2:USER_SGPR: 15
; COMPUTE_PGM_RSRC2:TRAP_HANDLER: 0
; COMPUTE_PGM_RSRC2:TGID_X_EN: 1
; COMPUTE_PGM_RSRC2:TGID_Y_EN: 0
; COMPUTE_PGM_RSRC2:TGID_Z_EN: 0
; COMPUTE_PGM_RSRC2:TIDIG_COMP_CNT: 0
	.section	.text._ZN9rocsparseL29bsrmmnt_small_blockdim_kernelILj64ELj16ELj2EliffffEEv20rocsparse_direction_T3_S2_llNS_24const_host_device_scalarIT7_EEPKT2_PKS2_PKT4_PKT5_llS5_PT6_ll16rocsparse_order_21rocsparse_index_base_b,"axG",@progbits,_ZN9rocsparseL29bsrmmnt_small_blockdim_kernelILj64ELj16ELj2EliffffEEv20rocsparse_direction_T3_S2_llNS_24const_host_device_scalarIT7_EEPKT2_PKS2_PKT4_PKT5_llS5_PT6_ll16rocsparse_order_21rocsparse_index_base_b,comdat
	.globl	_ZN9rocsparseL29bsrmmnt_small_blockdim_kernelILj64ELj16ELj2EliffffEEv20rocsparse_direction_T3_S2_llNS_24const_host_device_scalarIT7_EEPKT2_PKS2_PKT4_PKT5_llS5_PT6_ll16rocsparse_order_21rocsparse_index_base_b ; -- Begin function _ZN9rocsparseL29bsrmmnt_small_blockdim_kernelILj64ELj16ELj2EliffffEEv20rocsparse_direction_T3_S2_llNS_24const_host_device_scalarIT7_EEPKT2_PKS2_PKT4_PKT5_llS5_PT6_ll16rocsparse_order_21rocsparse_index_base_b
	.p2align	8
	.type	_ZN9rocsparseL29bsrmmnt_small_blockdim_kernelILj64ELj16ELj2EliffffEEv20rocsparse_direction_T3_S2_llNS_24const_host_device_scalarIT7_EEPKT2_PKS2_PKT4_PKT5_llS5_PT6_ll16rocsparse_order_21rocsparse_index_base_b,@function
_ZN9rocsparseL29bsrmmnt_small_blockdim_kernelILj64ELj16ELj2EliffffEEv20rocsparse_direction_T3_S2_llNS_24const_host_device_scalarIT7_EEPKT2_PKS2_PKT4_PKT5_llS5_PT6_ll16rocsparse_order_21rocsparse_index_base_b: ; @_ZN9rocsparseL29bsrmmnt_small_blockdim_kernelILj64ELj16ELj2EliffffEEv20rocsparse_direction_T3_S2_llNS_24const_host_device_scalarIT7_EEPKT2_PKS2_PKT4_PKT5_llS5_PT6_ll16rocsparse_order_21rocsparse_index_base_b
; %bb.0:
	s_clause 0x2
	s_load_b128 s[16:19], s[0:1], 0x78
	s_load_b64 s[2:3], s[0:1], 0x20
	s_load_b64 s[24:25], s[0:1], 0x58
	s_waitcnt lgkmcnt(0)
	s_bitcmp1_b32 s18, 0
	s_cselect_b32 s4, -1, 0
	s_delay_alu instid0(SALU_CYCLE_1)
	s_and_b32 vcc_lo, exec_lo, s4
	s_xor_b32 s4, s4, -1
	s_cbranch_vccnz .LBB26_2
; %bb.1:
	s_load_b32 s2, s[2:3], 0x0
.LBB26_2:
	s_and_not1_b32 vcc_lo, exec_lo, s4
	s_cbranch_vccnz .LBB26_4
; %bb.3:
	s_load_b32 s24, s[24:25], 0x0
.LBB26_4:
	s_waitcnt lgkmcnt(0)
	v_cmp_eq_f32_e64 s3, s2, 0
	v_cmp_eq_f32_e64 s4, s24, 1.0
	s_delay_alu instid0(VALU_DEP_1) | instskip(NEXT) | instid1(SALU_CYCLE_1)
	s_and_b32 s3, s3, s4
	s_and_b32 vcc_lo, exec_lo, s3
	s_cbranch_vccnz .LBB26_30
; %bb.5:
	s_clause 0x1
	s_load_b32 s3, s[0:1], 0x94
	s_load_b128 s[20:23], s[0:1], 0x0
	s_waitcnt lgkmcnt(0)
	s_and_b32 s3, s3, 0xffff
	s_delay_alu instid0(SALU_CYCLE_1) | instskip(SKIP_1) | instid1(VALU_DEP_1)
	v_mad_u64_u32 v[1:2], null, s15, s3, v[0:1]
	s_mov_b32 s3, exec_lo
	v_lshrrev_b32_e32 v2, 5, v1
	s_delay_alu instid0(VALU_DEP_1)
	v_cmpx_gt_i32_e64 s21, v2
	s_cbranch_execz .LBB26_30
; %bb.6:
	s_cmp_lt_i32 s22, 1
	s_cbranch_scc1 .LBB26_30
; %bb.7:
	s_load_b256 s[4:11], s[0:1], 0x28
	v_lshlrev_b32_e32 v2, 3, v2
	s_load_b128 s[12:15], s[0:1], 0x60
	v_lshrrev_b32_e32 v13, 4, v1
	v_and_b32_e32 v10, 15, v0
	v_bfe_u32 v19, v1, 4, 1
	s_cmp_lg_u32 s16, 1
	v_cmp_neq_f32_e64 s3, s24, 0
	s_cselect_b32 s16, -1, 0
	s_cmp_eq_u32 s20, 0
	v_lshlrev_b32_e32 v17, 2, v13
	s_waitcnt lgkmcnt(0)
	global_load_b128 v[4:7], v2, s[4:5]
	s_load_b64 s[4:5], s[0:1], 0x48
	v_mad_u64_u32 v[2:3], null, v13, s14, 0
	s_cselect_b32 s1, -1, 0
	s_waitcnt vmcnt(0)
	s_delay_alu instid0(VALU_DEP_1) | instskip(SKIP_3) | instid1(VALU_DEP_3)
	v_mad_u64_u32 v[8:9], null, v13, s15, v[3:4]
	v_lshrrev_b32_e32 v9, 4, v0
	v_mul_u32_u24_e32 v0, 3, v10
	v_cmp_lt_i64_e64 s0, v[4:5], v[6:7]
	v_lshl_or_b32 v11, v9, 6, 0x300
	s_delay_alu instid0(VALU_DEP_3) | instskip(SKIP_2) | instid1(VALU_DEP_4)
	v_dual_mov_b32 v3, v8 :: v_dual_lshlrev_b32 v14, 2, v0
	v_cndmask_b32_e64 v8, 0, 1, s1
	v_mul_u32_u24_e32 v12, 0xc0, v9
	v_lshl_or_b32 v13, v10, 2, v11
	s_delay_alu instid0(VALU_DEP_4) | instskip(SKIP_3) | instid1(VALU_DEP_3)
	v_lshlrev_b64 v[0:1], 2, v[2:3]
	v_mad_u32_u24 v14, 0xc0, v9, v14
	v_lshlrev_b32_e32 v19, v8, v19
	s_and_b32 s1, s1, exec_lo
	v_add_co_u32 v15, vcc_lo, s12, v0
	s_delay_alu instid0(VALU_DEP_4)
	v_add_co_ci_u32_e32 v16, vcc_lo, s13, v1, vcc_lo
	v_sub_co_u32 v0, vcc_lo, v4, s17
	v_subrev_co_ci_u32_e32 v1, vcc_lo, 0, v5, vcc_lo
	v_sub_co_u32 v2, vcc_lo, v6, s17
	v_add_co_u32 v17, s12, s12, v17
	v_subrev_co_ci_u32_e32 v3, vcc_lo, 0, v7, vcc_lo
	v_add_co_ci_u32_e64 v18, null, s13, 0, s12
	s_mov_b32 s12, 0
	s_cselect_b32 s13, 1, 2
	s_branch .LBB26_9
.LBB26_8:                               ;   in Loop: Header=BB26_9 Depth=1
	s_or_b32 exec_lo, exec_lo, s1
	s_add_i32 s12, s12, 16
	s_delay_alu instid0(SALU_CYCLE_1)
	s_cmp_lt_i32 s12, s22
	s_cbranch_scc0 .LBB26_30
.LBB26_9:                               ; =>This Loop Header: Depth=1
                                        ;     Child Loop BB26_12 Depth 2
                                        ;       Child Loop BB26_16 Depth 3
	v_or_b32_e32 v4, s12, v10
	v_mov_b32_e32 v20, 0
	s_delay_alu instid0(VALU_DEP_2)
	v_ashrrev_i32_e32 v5, 31, v4
	s_and_saveexec_b32 s18, s0
	s_cbranch_execz .LBB26_18
; %bb.10:                               ;   in Loop: Header=BB26_9 Depth=1
	s_delay_alu instid0(VALU_DEP_1) | instskip(SKIP_3) | instid1(VALU_DEP_3)
	v_lshlrev_b64 v[6:7], 2, v[4:5]
	v_mov_b32_e32 v20, 0
	v_cmp_gt_i32_e32 vcc_lo, s22, v4
	s_mov_b32 s19, 0
	v_add_co_u32 v21, s1, s10, v6
	s_delay_alu instid0(VALU_DEP_1)
	v_add_co_ci_u32_e64 v22, s1, s11, v7, s1
	v_dual_mov_b32 v7, v1 :: v_dual_mov_b32 v6, v0
	s_branch .LBB26_12
.LBB26_11:                              ;   in Loop: Header=BB26_12 Depth=2
	s_or_b32 exec_lo, exec_lo, s20
	v_add_co_u32 v6, s1, v6, 16
	s_delay_alu instid0(VALU_DEP_1) | instskip(NEXT) | instid1(VALU_DEP_1)
	v_add_co_ci_u32_e64 v7, s1, 0, v7, s1
	v_cmp_ge_i64_e64 s1, v[6:7], v[2:3]
	s_delay_alu instid0(VALU_DEP_1) | instskip(NEXT) | instid1(SALU_CYCLE_1)
	s_or_b32 s19, s1, s19
	s_and_not1_b32 exec_lo, exec_lo, s19
	s_cbranch_execz .LBB26_17
.LBB26_12:                              ;   Parent Loop BB26_9 Depth=1
                                        ; =>  This Loop Header: Depth=2
                                        ;       Child Loop BB26_16 Depth 3
	s_delay_alu instid0(VALU_DEP_1) | instskip(NEXT) | instid1(VALU_DEP_1)
	v_add_co_u32 v8, s1, v6, v10
	v_add_co_ci_u32_e64 v9, s1, 0, v7, s1
	v_dual_mov_b32 v24, 0 :: v_dual_mov_b32 v23, 0
	v_mov_b32_e32 v25, 0
	s_mov_b32 s20, exec_lo
	s_delay_alu instid0(VALU_DEP_3)
	v_cmpx_lt_i64_e64 v[8:9], v[2:3]
	s_cbranch_execz .LBB26_14
; %bb.13:                               ;   in Loop: Header=BB26_12 Depth=2
	v_lshlrev_b64 v[8:9], 2, v[8:9]
	s_delay_alu instid0(VALU_DEP_1) | instskip(NEXT) | instid1(VALU_DEP_2)
	v_or_b32_e32 v24, 0, v9
	v_or_b32_e32 v23, v8, v19
	v_add_co_u32 v8, s1, s6, v8
	s_delay_alu instid0(VALU_DEP_1) | instskip(NEXT) | instid1(VALU_DEP_4)
	v_add_co_ci_u32_e64 v9, s1, s7, v9, s1
	v_or_b32_e32 v26, 0, v24
	s_delay_alu instid0(VALU_DEP_4) | instskip(SKIP_4) | instid1(VALU_DEP_1)
	v_or_b32_e32 v25, s13, v23
	v_lshlrev_b64 v[23:24], 2, v[23:24]
	global_load_b32 v27, v[8:9], off
	v_lshlrev_b64 v[8:9], 2, v[25:26]
	v_add_co_u32 v23, s1, s8, v23
	v_add_co_ci_u32_e64 v24, s1, s9, v24, s1
	s_delay_alu instid0(VALU_DEP_3) | instskip(NEXT) | instid1(VALU_DEP_1)
	v_add_co_u32 v8, s1, s8, v8
	v_add_co_ci_u32_e64 v9, s1, s9, v9, s1
	s_clause 0x1
	global_load_b32 v23, v[23:24], off
	global_load_b32 v25, v[8:9], off
	s_waitcnt vmcnt(2)
	v_subrev_nc_u32_e32 v8, s17, v27
	s_delay_alu instid0(VALU_DEP_1)
	v_lshlrev_b32_e32 v24, 1, v8
.LBB26_14:                              ;   in Loop: Header=BB26_12 Depth=2
	s_or_b32 exec_lo, exec_lo, s20
	ds_store_b32 v13, v24
	s_waitcnt vmcnt(0)
	ds_store_2addr_b32 v14, v23, v25 offset1:1
	s_waitcnt lgkmcnt(0)
	s_waitcnt_vscnt null, 0x0
	s_barrier
	buffer_gl0_inv
	s_and_saveexec_b32 s20, vcc_lo
	s_cbranch_execz .LBB26_11
; %bb.15:                               ;   in Loop: Header=BB26_12 Depth=2
	v_mov_b32_e32 v8, v12
	s_mov_b32 s21, 0
.LBB26_16:                              ;   Parent Loop BB26_9 Depth=1
                                        ;     Parent Loop BB26_12 Depth=2
                                        ; =>    This Inner Loop Header: Depth=3
	s_delay_alu instid0(SALU_CYCLE_1) | instskip(SKIP_1) | instid1(SALU_CYCLE_1)
	v_add_nc_u32_e32 v9, s21, v11
	s_add_i32 s21, s21, 8
	s_cmp_lg_u32 s21, 64
	ds_load_b64 v[23:24], v9
	s_waitcnt lgkmcnt(0)
	v_ashrrev_i32_e32 v9, 31, v23
	v_mul_lo_u32 v31, v23, s5
	v_mad_u64_u32 v[25:26], null, v23, s4, 0
	v_ashrrev_i32_e32 v30, 31, v24
	s_delay_alu instid0(VALU_DEP_4) | instskip(SKIP_4) | instid1(VALU_DEP_4)
	v_mul_lo_u32 v9, v9, s4
	v_add_nc_u32_e32 v33, 1, v24
	v_mul_lo_u32 v32, v24, s5
	v_mad_u64_u32 v[27:28], null, v24, s4, 0
	v_mul_lo_u32 v36, v30, s4
	v_ashrrev_i32_e32 v37, 31, v33
	v_mul_lo_u32 v38, v33, s5
	v_add3_u32 v26, v26, v31, v9
	s_delay_alu instid0(VALU_DEP_4) | instskip(NEXT) | instid1(VALU_DEP_2)
	v_add3_u32 v28, v28, v32, v36
	v_lshlrev_b64 v[25:26], 2, v[25:26]
	s_delay_alu instid0(VALU_DEP_2) | instskip(NEXT) | instid1(VALU_DEP_2)
	v_lshlrev_b64 v[27:28], 2, v[27:28]
	v_add_co_u32 v25, s1, v21, v25
	s_delay_alu instid0(VALU_DEP_1) | instskip(SKIP_2) | instid1(VALU_DEP_1)
	v_add_co_ci_u32_e64 v26, s1, v22, v26, s1
	global_load_b32 v9, v[25:26], off
	v_add_nc_u32_e32 v29, 1, v23
	v_ashrrev_i32_e32 v34, 31, v29
	v_mul_lo_u32 v35, v29, s5
	v_mad_u64_u32 v[23:24], null, v29, s4, 0
	v_mad_u64_u32 v[29:30], null, v33, s4, 0
	s_delay_alu instid0(VALU_DEP_4) | instskip(SKIP_1) | instid1(VALU_DEP_2)
	v_mul_lo_u32 v33, v34, s4
	v_mul_lo_u32 v34, v37, s4
	v_add3_u32 v24, v24, v35, v33
	s_delay_alu instid0(VALU_DEP_2) | instskip(NEXT) | instid1(VALU_DEP_2)
	v_add3_u32 v30, v30, v38, v34
	v_lshlrev_b64 v[23:24], 2, v[23:24]
	s_delay_alu instid0(VALU_DEP_2) | instskip(NEXT) | instid1(VALU_DEP_2)
	v_lshlrev_b64 v[29:30], 2, v[29:30]
	v_add_co_u32 v23, s1, v21, v23
	s_delay_alu instid0(VALU_DEP_1) | instskip(SKIP_1) | instid1(VALU_DEP_1)
	v_add_co_ci_u32_e64 v24, s1, v22, v24, s1
	v_add_co_u32 v25, s1, v21, v27
	v_add_co_ci_u32_e64 v26, s1, v22, v28, s1
	global_load_b32 v27, v[23:24], off
	v_add_co_u32 v23, s1, v21, v29
	s_delay_alu instid0(VALU_DEP_1)
	v_add_co_ci_u32_e64 v24, s1, v22, v30, s1
	s_clause 0x1
	global_load_b32 v28, v[25:26], off
	global_load_b32 v29, v[23:24], off
	ds_load_b64 v[23:24], v8
	ds_load_2addr_b32 v[25:26], v8 offset0:3 offset1:4
	v_add_nc_u32_e32 v8, 24, v8
	s_waitcnt vmcnt(3) lgkmcnt(1)
	v_fmac_f32_e32 v20, v23, v9
	s_waitcnt vmcnt(2)
	s_delay_alu instid0(VALU_DEP_1) | instskip(SKIP_1) | instid1(VALU_DEP_1)
	v_fmac_f32_e32 v20, v24, v27
	s_waitcnt vmcnt(1) lgkmcnt(0)
	v_fmac_f32_e32 v20, v25, v28
	s_waitcnt vmcnt(0)
	s_delay_alu instid0(VALU_DEP_1)
	v_fmac_f32_e32 v20, v26, v29
	s_cbranch_scc1 .LBB26_16
	s_branch .LBB26_11
.LBB26_17:                              ;   in Loop: Header=BB26_9 Depth=1
	s_or_b32 exec_lo, exec_lo, s19
.LBB26_18:                              ;   in Loop: Header=BB26_9 Depth=1
	s_delay_alu instid0(SALU_CYCLE_1) | instskip(NEXT) | instid1(SALU_CYCLE_1)
	s_or_b32 exec_lo, exec_lo, s18
	s_mov_b32 s1, exec_lo
	v_cmpx_gt_i32_e64 s22, v4
	s_cbranch_execz .LBB26_8
; %bb.19:                               ;   in Loop: Header=BB26_9 Depth=1
	s_and_b32 vcc_lo, exec_lo, s3
	s_cbranch_vccz .LBB26_25
; %bb.20:                               ;   in Loop: Header=BB26_9 Depth=1
	s_and_b32 vcc_lo, exec_lo, s16
	s_mov_b32 s18, -1
	s_cbranch_vccz .LBB26_22
; %bb.21:                               ;   in Loop: Header=BB26_9 Depth=1
	v_lshlrev_b64 v[6:7], 2, v[4:5]
	v_mul_f32_e32 v9, s2, v20
	s_mov_b32 s18, 0
	s_delay_alu instid0(VALU_DEP_2) | instskip(NEXT) | instid1(VALU_DEP_3)
	v_add_co_u32 v6, vcc_lo, v15, v6
	v_add_co_ci_u32_e32 v7, vcc_lo, v16, v7, vcc_lo
	global_load_b32 v8, v[6:7], off
	s_waitcnt vmcnt(0)
	v_fmac_f32_e32 v9, s24, v8
	global_store_b32 v[6:7], v9, off
.LBB26_22:                              ;   in Loop: Header=BB26_9 Depth=1
	s_and_not1_b32 vcc_lo, exec_lo, s18
	s_cbranch_vccnz .LBB26_24
; %bb.23:                               ;   in Loop: Header=BB26_9 Depth=1
	v_mul_lo_u32 v8, v5, s14
	v_mul_lo_u32 v9, v4, s15
	v_mad_u64_u32 v[6:7], null, v4, s14, 0
	s_delay_alu instid0(VALU_DEP_1) | instskip(SKIP_1) | instid1(VALU_DEP_2)
	v_add3_u32 v7, v7, v9, v8
	v_mul_f32_e32 v9, s2, v20
	v_lshlrev_b64 v[6:7], 2, v[6:7]
	s_delay_alu instid0(VALU_DEP_1) | instskip(NEXT) | instid1(VALU_DEP_2)
	v_add_co_u32 v6, vcc_lo, v17, v6
	v_add_co_ci_u32_e32 v7, vcc_lo, v18, v7, vcc_lo
	global_load_b32 v8, v[6:7], off
	s_waitcnt vmcnt(0)
	v_fmac_f32_e32 v9, s24, v8
	global_store_b32 v[6:7], v9, off
.LBB26_24:                              ;   in Loop: Header=BB26_9 Depth=1
	s_cbranch_execnz .LBB26_8
	s_branch .LBB26_26
.LBB26_25:                              ;   in Loop: Header=BB26_9 Depth=1
.LBB26_26:                              ;   in Loop: Header=BB26_9 Depth=1
	v_mul_f32_e32 v6, s2, v20
	s_and_b32 vcc_lo, exec_lo, s16
	s_mov_b32 s18, -1
	s_cbranch_vccz .LBB26_28
; %bb.27:                               ;   in Loop: Header=BB26_9 Depth=1
	v_lshlrev_b64 v[7:8], 2, v[4:5]
	s_mov_b32 s18, 0
	s_delay_alu instid0(VALU_DEP_1) | instskip(NEXT) | instid1(VALU_DEP_2)
	v_add_co_u32 v7, vcc_lo, v15, v7
	v_add_co_ci_u32_e32 v8, vcc_lo, v16, v8, vcc_lo
	global_store_b32 v[7:8], v6, off
.LBB26_28:                              ;   in Loop: Header=BB26_9 Depth=1
	s_and_not1_b32 vcc_lo, exec_lo, s18
	s_cbranch_vccnz .LBB26_8
; %bb.29:                               ;   in Loop: Header=BB26_9 Depth=1
	v_mul_lo_u32 v5, v5, s14
	v_mul_lo_u32 v9, v4, s15
	v_mad_u64_u32 v[7:8], null, v4, s14, 0
	s_delay_alu instid0(VALU_DEP_1) | instskip(NEXT) | instid1(VALU_DEP_1)
	v_add3_u32 v8, v8, v9, v5
	v_lshlrev_b64 v[4:5], 2, v[7:8]
	s_delay_alu instid0(VALU_DEP_1) | instskip(NEXT) | instid1(VALU_DEP_2)
	v_add_co_u32 v4, vcc_lo, v17, v4
	v_add_co_ci_u32_e32 v5, vcc_lo, v18, v5, vcc_lo
	global_store_b32 v[4:5], v6, off
	s_branch .LBB26_8
.LBB26_30:
	s_nop 0
	s_sendmsg sendmsg(MSG_DEALLOC_VGPRS)
	s_endpgm
	.section	.rodata,"a",@progbits
	.p2align	6, 0x0
	.amdhsa_kernel _ZN9rocsparseL29bsrmmnt_small_blockdim_kernelILj64ELj16ELj2EliffffEEv20rocsparse_direction_T3_S2_llNS_24const_host_device_scalarIT7_EEPKT2_PKS2_PKT4_PKT5_llS5_PT6_ll16rocsparse_order_21rocsparse_index_base_b
		.amdhsa_group_segment_fixed_size 1024
		.amdhsa_private_segment_fixed_size 0
		.amdhsa_kernarg_size 392
		.amdhsa_user_sgpr_count 15
		.amdhsa_user_sgpr_dispatch_ptr 0
		.amdhsa_user_sgpr_queue_ptr 0
		.amdhsa_user_sgpr_kernarg_segment_ptr 1
		.amdhsa_user_sgpr_dispatch_id 0
		.amdhsa_user_sgpr_private_segment_size 0
		.amdhsa_wavefront_size32 1
		.amdhsa_uses_dynamic_stack 0
		.amdhsa_enable_private_segment 0
		.amdhsa_system_sgpr_workgroup_id_x 1
		.amdhsa_system_sgpr_workgroup_id_y 0
		.amdhsa_system_sgpr_workgroup_id_z 0
		.amdhsa_system_sgpr_workgroup_info 0
		.amdhsa_system_vgpr_workitem_id 0
		.amdhsa_next_free_vgpr 39
		.amdhsa_next_free_sgpr 26
		.amdhsa_reserve_vcc 1
		.amdhsa_float_round_mode_32 0
		.amdhsa_float_round_mode_16_64 0
		.amdhsa_float_denorm_mode_32 3
		.amdhsa_float_denorm_mode_16_64 3
		.amdhsa_dx10_clamp 1
		.amdhsa_ieee_mode 1
		.amdhsa_fp16_overflow 0
		.amdhsa_workgroup_processor_mode 1
		.amdhsa_memory_ordered 1
		.amdhsa_forward_progress 0
		.amdhsa_shared_vgpr_count 0
		.amdhsa_exception_fp_ieee_invalid_op 0
		.amdhsa_exception_fp_denorm_src 0
		.amdhsa_exception_fp_ieee_div_zero 0
		.amdhsa_exception_fp_ieee_overflow 0
		.amdhsa_exception_fp_ieee_underflow 0
		.amdhsa_exception_fp_ieee_inexact 0
		.amdhsa_exception_int_div_zero 0
	.end_amdhsa_kernel
	.section	.text._ZN9rocsparseL29bsrmmnt_small_blockdim_kernelILj64ELj16ELj2EliffffEEv20rocsparse_direction_T3_S2_llNS_24const_host_device_scalarIT7_EEPKT2_PKS2_PKT4_PKT5_llS5_PT6_ll16rocsparse_order_21rocsparse_index_base_b,"axG",@progbits,_ZN9rocsparseL29bsrmmnt_small_blockdim_kernelILj64ELj16ELj2EliffffEEv20rocsparse_direction_T3_S2_llNS_24const_host_device_scalarIT7_EEPKT2_PKS2_PKT4_PKT5_llS5_PT6_ll16rocsparse_order_21rocsparse_index_base_b,comdat
.Lfunc_end26:
	.size	_ZN9rocsparseL29bsrmmnt_small_blockdim_kernelILj64ELj16ELj2EliffffEEv20rocsparse_direction_T3_S2_llNS_24const_host_device_scalarIT7_EEPKT2_PKS2_PKT4_PKT5_llS5_PT6_ll16rocsparse_order_21rocsparse_index_base_b, .Lfunc_end26-_ZN9rocsparseL29bsrmmnt_small_blockdim_kernelILj64ELj16ELj2EliffffEEv20rocsparse_direction_T3_S2_llNS_24const_host_device_scalarIT7_EEPKT2_PKS2_PKT4_PKT5_llS5_PT6_ll16rocsparse_order_21rocsparse_index_base_b
                                        ; -- End function
	.section	.AMDGPU.csdata,"",@progbits
; Kernel info:
; codeLenInByte = 1640
; NumSgprs: 28
; NumVgprs: 39
; ScratchSize: 0
; MemoryBound: 0
; FloatMode: 240
; IeeeMode: 1
; LDSByteSize: 1024 bytes/workgroup (compile time only)
; SGPRBlocks: 3
; VGPRBlocks: 4
; NumSGPRsForWavesPerEU: 28
; NumVGPRsForWavesPerEU: 39
; Occupancy: 16
; WaveLimiterHint : 0
; COMPUTE_PGM_RSRC2:SCRATCH_EN: 0
; COMPUTE_PGM_RSRC2:USER_SGPR: 15
; COMPUTE_PGM_RSRC2:TRAP_HANDLER: 0
; COMPUTE_PGM_RSRC2:TGID_X_EN: 1
; COMPUTE_PGM_RSRC2:TGID_Y_EN: 0
; COMPUTE_PGM_RSRC2:TGID_Z_EN: 0
; COMPUTE_PGM_RSRC2:TIDIG_COMP_CNT: 0
	.section	.text._ZN9rocsparseL29bsrmmnt_small_blockdim_kernelILj64ELj32ELj2EliffffEEv20rocsparse_direction_T3_S2_llNS_24const_host_device_scalarIT7_EEPKT2_PKS2_PKT4_PKT5_llS5_PT6_ll16rocsparse_order_21rocsparse_index_base_b,"axG",@progbits,_ZN9rocsparseL29bsrmmnt_small_blockdim_kernelILj64ELj32ELj2EliffffEEv20rocsparse_direction_T3_S2_llNS_24const_host_device_scalarIT7_EEPKT2_PKS2_PKT4_PKT5_llS5_PT6_ll16rocsparse_order_21rocsparse_index_base_b,comdat
	.globl	_ZN9rocsparseL29bsrmmnt_small_blockdim_kernelILj64ELj32ELj2EliffffEEv20rocsparse_direction_T3_S2_llNS_24const_host_device_scalarIT7_EEPKT2_PKS2_PKT4_PKT5_llS5_PT6_ll16rocsparse_order_21rocsparse_index_base_b ; -- Begin function _ZN9rocsparseL29bsrmmnt_small_blockdim_kernelILj64ELj32ELj2EliffffEEv20rocsparse_direction_T3_S2_llNS_24const_host_device_scalarIT7_EEPKT2_PKS2_PKT4_PKT5_llS5_PT6_ll16rocsparse_order_21rocsparse_index_base_b
	.p2align	8
	.type	_ZN9rocsparseL29bsrmmnt_small_blockdim_kernelILj64ELj32ELj2EliffffEEv20rocsparse_direction_T3_S2_llNS_24const_host_device_scalarIT7_EEPKT2_PKS2_PKT4_PKT5_llS5_PT6_ll16rocsparse_order_21rocsparse_index_base_b,@function
_ZN9rocsparseL29bsrmmnt_small_blockdim_kernelILj64ELj32ELj2EliffffEEv20rocsparse_direction_T3_S2_llNS_24const_host_device_scalarIT7_EEPKT2_PKS2_PKT4_PKT5_llS5_PT6_ll16rocsparse_order_21rocsparse_index_base_b: ; @_ZN9rocsparseL29bsrmmnt_small_blockdim_kernelILj64ELj32ELj2EliffffEEv20rocsparse_direction_T3_S2_llNS_24const_host_device_scalarIT7_EEPKT2_PKS2_PKT4_PKT5_llS5_PT6_ll16rocsparse_order_21rocsparse_index_base_b
; %bb.0:
	s_clause 0x2
	s_load_b128 s[16:19], s[0:1], 0x78
	s_load_b64 s[2:3], s[0:1], 0x20
	s_load_b64 s[24:25], s[0:1], 0x58
	s_waitcnt lgkmcnt(0)
	s_bitcmp1_b32 s18, 0
	s_cselect_b32 s4, -1, 0
	s_delay_alu instid0(SALU_CYCLE_1)
	s_and_b32 vcc_lo, exec_lo, s4
	s_xor_b32 s4, s4, -1
	s_cbranch_vccnz .LBB27_2
; %bb.1:
	s_load_b32 s2, s[2:3], 0x0
.LBB27_2:
	s_and_not1_b32 vcc_lo, exec_lo, s4
	s_cbranch_vccnz .LBB27_4
; %bb.3:
	s_load_b32 s24, s[24:25], 0x0
.LBB27_4:
	s_waitcnt lgkmcnt(0)
	v_cmp_eq_f32_e64 s3, s2, 0
	v_cmp_eq_f32_e64 s4, s24, 1.0
	s_delay_alu instid0(VALU_DEP_1) | instskip(NEXT) | instid1(SALU_CYCLE_1)
	s_and_b32 s3, s3, s4
	s_and_b32 vcc_lo, exec_lo, s3
	s_cbranch_vccnz .LBB27_30
; %bb.5:
	s_clause 0x1
	s_load_b32 s3, s[0:1], 0x94
	s_load_b128 s[20:23], s[0:1], 0x0
	s_waitcnt lgkmcnt(0)
	s_and_b32 s3, s3, 0xffff
	s_delay_alu instid0(SALU_CYCLE_1) | instskip(SKIP_1) | instid1(VALU_DEP_1)
	v_mad_u64_u32 v[1:2], null, s15, s3, v[0:1]
	s_mov_b32 s3, exec_lo
	v_lshrrev_b32_e32 v2, 6, v1
	s_delay_alu instid0(VALU_DEP_1)
	v_cmpx_gt_i32_e64 s21, v2
	s_cbranch_execz .LBB27_30
; %bb.6:
	s_cmp_lt_i32 s22, 1
	s_cbranch_scc1 .LBB27_30
; %bb.7:
	s_load_b256 s[4:11], s[0:1], 0x28
	v_lshlrev_b32_e32 v2, 3, v2
	s_load_b128 s[12:15], s[0:1], 0x60
	v_lshrrev_b32_e32 v13, 5, v1
	v_and_b32_e32 v10, 31, v0
	v_bfe_u32 v19, v1, 5, 1
	s_cmp_lg_u32 s16, 1
	v_cmp_neq_f32_e64 s3, s24, 0
	s_cselect_b32 s16, -1, 0
	s_cmp_eq_u32 s20, 0
	v_lshlrev_b32_e32 v17, 2, v13
	s_waitcnt lgkmcnt(0)
	global_load_b128 v[4:7], v2, s[4:5]
	s_load_b64 s[4:5], s[0:1], 0x48
	v_mad_u64_u32 v[2:3], null, v13, s14, 0
	s_cselect_b32 s1, -1, 0
	s_waitcnt vmcnt(0)
	s_delay_alu instid0(VALU_DEP_1) | instskip(SKIP_3) | instid1(VALU_DEP_3)
	v_mad_u64_u32 v[8:9], null, v13, s15, v[3:4]
	v_lshrrev_b32_e32 v9, 5, v0
	v_mul_u32_u24_e32 v0, 3, v10
	v_cmp_lt_i64_e64 s0, v[4:5], v[6:7]
	v_lshl_or_b32 v11, v9, 7, 0x300
	s_delay_alu instid0(VALU_DEP_3) | instskip(SKIP_2) | instid1(VALU_DEP_4)
	v_dual_mov_b32 v3, v8 :: v_dual_lshlrev_b32 v14, 2, v0
	v_cndmask_b32_e64 v8, 0, 1, s1
	v_mul_u32_u24_e32 v12, 0x180, v9
	v_lshl_or_b32 v13, v10, 2, v11
	s_delay_alu instid0(VALU_DEP_4) | instskip(SKIP_3) | instid1(VALU_DEP_3)
	v_lshlrev_b64 v[0:1], 2, v[2:3]
	v_mad_u32_u24 v14, 0x180, v9, v14
	v_lshlrev_b32_e32 v19, v8, v19
	s_and_b32 s1, s1, exec_lo
	v_add_co_u32 v15, vcc_lo, s12, v0
	s_delay_alu instid0(VALU_DEP_4)
	v_add_co_ci_u32_e32 v16, vcc_lo, s13, v1, vcc_lo
	v_sub_co_u32 v0, vcc_lo, v4, s17
	v_subrev_co_ci_u32_e32 v1, vcc_lo, 0, v5, vcc_lo
	v_sub_co_u32 v2, vcc_lo, v6, s17
	v_add_co_u32 v17, s12, s12, v17
	v_subrev_co_ci_u32_e32 v3, vcc_lo, 0, v7, vcc_lo
	v_add_co_ci_u32_e64 v18, null, s13, 0, s12
	s_mov_b32 s12, 0
	s_cselect_b32 s13, 1, 2
	s_branch .LBB27_9
.LBB27_8:                               ;   in Loop: Header=BB27_9 Depth=1
	s_or_b32 exec_lo, exec_lo, s1
	s_add_i32 s12, s12, 32
	s_delay_alu instid0(SALU_CYCLE_1)
	s_cmp_lt_i32 s12, s22
	s_cbranch_scc0 .LBB27_30
.LBB27_9:                               ; =>This Loop Header: Depth=1
                                        ;     Child Loop BB27_12 Depth 2
                                        ;       Child Loop BB27_16 Depth 3
	v_or_b32_e32 v4, s12, v10
	v_mov_b32_e32 v20, 0
	s_delay_alu instid0(VALU_DEP_2)
	v_ashrrev_i32_e32 v5, 31, v4
	s_and_saveexec_b32 s18, s0
	s_cbranch_execz .LBB27_18
; %bb.10:                               ;   in Loop: Header=BB27_9 Depth=1
	s_delay_alu instid0(VALU_DEP_1) | instskip(SKIP_3) | instid1(VALU_DEP_3)
	v_lshlrev_b64 v[6:7], 2, v[4:5]
	v_mov_b32_e32 v20, 0
	v_cmp_gt_i32_e32 vcc_lo, s22, v4
	s_mov_b32 s19, 0
	v_add_co_u32 v21, s1, s10, v6
	s_delay_alu instid0(VALU_DEP_1)
	v_add_co_ci_u32_e64 v22, s1, s11, v7, s1
	v_dual_mov_b32 v7, v1 :: v_dual_mov_b32 v6, v0
	s_branch .LBB27_12
.LBB27_11:                              ;   in Loop: Header=BB27_12 Depth=2
	s_or_b32 exec_lo, exec_lo, s20
	v_add_co_u32 v6, s1, v6, 32
	s_delay_alu instid0(VALU_DEP_1) | instskip(NEXT) | instid1(VALU_DEP_1)
	v_add_co_ci_u32_e64 v7, s1, 0, v7, s1
	v_cmp_ge_i64_e64 s1, v[6:7], v[2:3]
	s_delay_alu instid0(VALU_DEP_1) | instskip(NEXT) | instid1(SALU_CYCLE_1)
	s_or_b32 s19, s1, s19
	s_and_not1_b32 exec_lo, exec_lo, s19
	s_cbranch_execz .LBB27_17
.LBB27_12:                              ;   Parent Loop BB27_9 Depth=1
                                        ; =>  This Loop Header: Depth=2
                                        ;       Child Loop BB27_16 Depth 3
	s_delay_alu instid0(VALU_DEP_1) | instskip(NEXT) | instid1(VALU_DEP_1)
	v_add_co_u32 v8, s1, v6, v10
	v_add_co_ci_u32_e64 v9, s1, 0, v7, s1
	v_dual_mov_b32 v24, 0 :: v_dual_mov_b32 v23, 0
	v_mov_b32_e32 v25, 0
	s_mov_b32 s20, exec_lo
	s_delay_alu instid0(VALU_DEP_3)
	v_cmpx_lt_i64_e64 v[8:9], v[2:3]
	s_cbranch_execz .LBB27_14
; %bb.13:                               ;   in Loop: Header=BB27_12 Depth=2
	v_lshlrev_b64 v[8:9], 2, v[8:9]
	s_delay_alu instid0(VALU_DEP_1) | instskip(NEXT) | instid1(VALU_DEP_2)
	v_or_b32_e32 v24, 0, v9
	v_or_b32_e32 v23, v8, v19
	v_add_co_u32 v8, s1, s6, v8
	s_delay_alu instid0(VALU_DEP_1) | instskip(NEXT) | instid1(VALU_DEP_4)
	v_add_co_ci_u32_e64 v9, s1, s7, v9, s1
	v_or_b32_e32 v26, 0, v24
	s_delay_alu instid0(VALU_DEP_4) | instskip(SKIP_4) | instid1(VALU_DEP_1)
	v_or_b32_e32 v25, s13, v23
	v_lshlrev_b64 v[23:24], 2, v[23:24]
	global_load_b32 v27, v[8:9], off
	v_lshlrev_b64 v[8:9], 2, v[25:26]
	v_add_co_u32 v23, s1, s8, v23
	v_add_co_ci_u32_e64 v24, s1, s9, v24, s1
	s_delay_alu instid0(VALU_DEP_3) | instskip(NEXT) | instid1(VALU_DEP_1)
	v_add_co_u32 v8, s1, s8, v8
	v_add_co_ci_u32_e64 v9, s1, s9, v9, s1
	s_clause 0x1
	global_load_b32 v23, v[23:24], off
	global_load_b32 v25, v[8:9], off
	s_waitcnt vmcnt(2)
	v_subrev_nc_u32_e32 v8, s17, v27
	s_delay_alu instid0(VALU_DEP_1)
	v_lshlrev_b32_e32 v24, 1, v8
.LBB27_14:                              ;   in Loop: Header=BB27_12 Depth=2
	s_or_b32 exec_lo, exec_lo, s20
	ds_store_b32 v13, v24
	s_waitcnt vmcnt(0)
	ds_store_2addr_b32 v14, v23, v25 offset1:1
	s_waitcnt lgkmcnt(0)
	s_waitcnt_vscnt null, 0x0
	s_barrier
	buffer_gl0_inv
	s_and_saveexec_b32 s20, vcc_lo
	s_cbranch_execz .LBB27_11
; %bb.15:                               ;   in Loop: Header=BB27_12 Depth=2
	v_mov_b32_e32 v8, v12
	s_mov_b32 s21, 0
.LBB27_16:                              ;   Parent Loop BB27_9 Depth=1
                                        ;     Parent Loop BB27_12 Depth=2
                                        ; =>    This Inner Loop Header: Depth=3
	s_delay_alu instid0(SALU_CYCLE_1) | instskip(SKIP_1) | instid1(SALU_CYCLE_1)
	v_add_nc_u32_e32 v9, s21, v11
	s_add_i32 s21, s21, 8
	s_cmpk_lg_i32 s21, 0x80
	ds_load_b64 v[23:24], v9
	s_waitcnt lgkmcnt(0)
	v_ashrrev_i32_e32 v9, 31, v23
	v_mul_lo_u32 v31, v23, s5
	v_mad_u64_u32 v[25:26], null, v23, s4, 0
	v_ashrrev_i32_e32 v30, 31, v24
	s_delay_alu instid0(VALU_DEP_4) | instskip(SKIP_4) | instid1(VALU_DEP_4)
	v_mul_lo_u32 v9, v9, s4
	v_add_nc_u32_e32 v33, 1, v24
	v_mul_lo_u32 v32, v24, s5
	v_mad_u64_u32 v[27:28], null, v24, s4, 0
	v_mul_lo_u32 v36, v30, s4
	v_ashrrev_i32_e32 v37, 31, v33
	v_mul_lo_u32 v38, v33, s5
	v_add3_u32 v26, v26, v31, v9
	s_delay_alu instid0(VALU_DEP_4) | instskip(NEXT) | instid1(VALU_DEP_2)
	v_add3_u32 v28, v28, v32, v36
	v_lshlrev_b64 v[25:26], 2, v[25:26]
	s_delay_alu instid0(VALU_DEP_2) | instskip(NEXT) | instid1(VALU_DEP_2)
	v_lshlrev_b64 v[27:28], 2, v[27:28]
	v_add_co_u32 v25, s1, v21, v25
	s_delay_alu instid0(VALU_DEP_1) | instskip(SKIP_2) | instid1(VALU_DEP_1)
	v_add_co_ci_u32_e64 v26, s1, v22, v26, s1
	global_load_b32 v9, v[25:26], off
	v_add_nc_u32_e32 v29, 1, v23
	v_ashrrev_i32_e32 v34, 31, v29
	v_mul_lo_u32 v35, v29, s5
	v_mad_u64_u32 v[23:24], null, v29, s4, 0
	v_mad_u64_u32 v[29:30], null, v33, s4, 0
	s_delay_alu instid0(VALU_DEP_4) | instskip(SKIP_1) | instid1(VALU_DEP_2)
	v_mul_lo_u32 v33, v34, s4
	v_mul_lo_u32 v34, v37, s4
	v_add3_u32 v24, v24, v35, v33
	s_delay_alu instid0(VALU_DEP_2) | instskip(NEXT) | instid1(VALU_DEP_2)
	v_add3_u32 v30, v30, v38, v34
	v_lshlrev_b64 v[23:24], 2, v[23:24]
	s_delay_alu instid0(VALU_DEP_2) | instskip(NEXT) | instid1(VALU_DEP_2)
	v_lshlrev_b64 v[29:30], 2, v[29:30]
	v_add_co_u32 v23, s1, v21, v23
	s_delay_alu instid0(VALU_DEP_1) | instskip(SKIP_1) | instid1(VALU_DEP_1)
	v_add_co_ci_u32_e64 v24, s1, v22, v24, s1
	v_add_co_u32 v25, s1, v21, v27
	v_add_co_ci_u32_e64 v26, s1, v22, v28, s1
	global_load_b32 v27, v[23:24], off
	v_add_co_u32 v23, s1, v21, v29
	s_delay_alu instid0(VALU_DEP_1)
	v_add_co_ci_u32_e64 v24, s1, v22, v30, s1
	s_clause 0x1
	global_load_b32 v28, v[25:26], off
	global_load_b32 v29, v[23:24], off
	ds_load_b64 v[23:24], v8
	ds_load_2addr_b32 v[25:26], v8 offset0:3 offset1:4
	v_add_nc_u32_e32 v8, 24, v8
	s_waitcnt vmcnt(3) lgkmcnt(1)
	v_fmac_f32_e32 v20, v23, v9
	s_waitcnt vmcnt(2)
	s_delay_alu instid0(VALU_DEP_1) | instskip(SKIP_1) | instid1(VALU_DEP_1)
	v_fmac_f32_e32 v20, v24, v27
	s_waitcnt vmcnt(1) lgkmcnt(0)
	v_fmac_f32_e32 v20, v25, v28
	s_waitcnt vmcnt(0)
	s_delay_alu instid0(VALU_DEP_1)
	v_fmac_f32_e32 v20, v26, v29
	s_cbranch_scc1 .LBB27_16
	s_branch .LBB27_11
.LBB27_17:                              ;   in Loop: Header=BB27_9 Depth=1
	s_or_b32 exec_lo, exec_lo, s19
.LBB27_18:                              ;   in Loop: Header=BB27_9 Depth=1
	s_delay_alu instid0(SALU_CYCLE_1) | instskip(NEXT) | instid1(SALU_CYCLE_1)
	s_or_b32 exec_lo, exec_lo, s18
	s_mov_b32 s1, exec_lo
	v_cmpx_gt_i32_e64 s22, v4
	s_cbranch_execz .LBB27_8
; %bb.19:                               ;   in Loop: Header=BB27_9 Depth=1
	s_and_b32 vcc_lo, exec_lo, s3
	s_cbranch_vccz .LBB27_25
; %bb.20:                               ;   in Loop: Header=BB27_9 Depth=1
	s_and_b32 vcc_lo, exec_lo, s16
	s_mov_b32 s18, -1
	s_cbranch_vccz .LBB27_22
; %bb.21:                               ;   in Loop: Header=BB27_9 Depth=1
	v_lshlrev_b64 v[6:7], 2, v[4:5]
	v_mul_f32_e32 v9, s2, v20
	s_mov_b32 s18, 0
	s_delay_alu instid0(VALU_DEP_2) | instskip(NEXT) | instid1(VALU_DEP_3)
	v_add_co_u32 v6, vcc_lo, v15, v6
	v_add_co_ci_u32_e32 v7, vcc_lo, v16, v7, vcc_lo
	global_load_b32 v8, v[6:7], off
	s_waitcnt vmcnt(0)
	v_fmac_f32_e32 v9, s24, v8
	global_store_b32 v[6:7], v9, off
.LBB27_22:                              ;   in Loop: Header=BB27_9 Depth=1
	s_and_not1_b32 vcc_lo, exec_lo, s18
	s_cbranch_vccnz .LBB27_24
; %bb.23:                               ;   in Loop: Header=BB27_9 Depth=1
	v_mul_lo_u32 v8, v5, s14
	v_mul_lo_u32 v9, v4, s15
	v_mad_u64_u32 v[6:7], null, v4, s14, 0
	s_delay_alu instid0(VALU_DEP_1) | instskip(SKIP_1) | instid1(VALU_DEP_2)
	v_add3_u32 v7, v7, v9, v8
	v_mul_f32_e32 v9, s2, v20
	v_lshlrev_b64 v[6:7], 2, v[6:7]
	s_delay_alu instid0(VALU_DEP_1) | instskip(NEXT) | instid1(VALU_DEP_2)
	v_add_co_u32 v6, vcc_lo, v17, v6
	v_add_co_ci_u32_e32 v7, vcc_lo, v18, v7, vcc_lo
	global_load_b32 v8, v[6:7], off
	s_waitcnt vmcnt(0)
	v_fmac_f32_e32 v9, s24, v8
	global_store_b32 v[6:7], v9, off
.LBB27_24:                              ;   in Loop: Header=BB27_9 Depth=1
	s_cbranch_execnz .LBB27_8
	s_branch .LBB27_26
.LBB27_25:                              ;   in Loop: Header=BB27_9 Depth=1
.LBB27_26:                              ;   in Loop: Header=BB27_9 Depth=1
	v_mul_f32_e32 v6, s2, v20
	s_and_b32 vcc_lo, exec_lo, s16
	s_mov_b32 s18, -1
	s_cbranch_vccz .LBB27_28
; %bb.27:                               ;   in Loop: Header=BB27_9 Depth=1
	v_lshlrev_b64 v[7:8], 2, v[4:5]
	s_mov_b32 s18, 0
	s_delay_alu instid0(VALU_DEP_1) | instskip(NEXT) | instid1(VALU_DEP_2)
	v_add_co_u32 v7, vcc_lo, v15, v7
	v_add_co_ci_u32_e32 v8, vcc_lo, v16, v8, vcc_lo
	global_store_b32 v[7:8], v6, off
.LBB27_28:                              ;   in Loop: Header=BB27_9 Depth=1
	s_and_not1_b32 vcc_lo, exec_lo, s18
	s_cbranch_vccnz .LBB27_8
; %bb.29:                               ;   in Loop: Header=BB27_9 Depth=1
	v_mul_lo_u32 v5, v5, s14
	v_mul_lo_u32 v9, v4, s15
	v_mad_u64_u32 v[7:8], null, v4, s14, 0
	s_delay_alu instid0(VALU_DEP_1) | instskip(NEXT) | instid1(VALU_DEP_1)
	v_add3_u32 v8, v8, v9, v5
	v_lshlrev_b64 v[4:5], 2, v[7:8]
	s_delay_alu instid0(VALU_DEP_1) | instskip(NEXT) | instid1(VALU_DEP_2)
	v_add_co_u32 v4, vcc_lo, v17, v4
	v_add_co_ci_u32_e32 v5, vcc_lo, v18, v5, vcc_lo
	global_store_b32 v[4:5], v6, off
	s_branch .LBB27_8
.LBB27_30:
	s_nop 0
	s_sendmsg sendmsg(MSG_DEALLOC_VGPRS)
	s_endpgm
	.section	.rodata,"a",@progbits
	.p2align	6, 0x0
	.amdhsa_kernel _ZN9rocsparseL29bsrmmnt_small_blockdim_kernelILj64ELj32ELj2EliffffEEv20rocsparse_direction_T3_S2_llNS_24const_host_device_scalarIT7_EEPKT2_PKS2_PKT4_PKT5_llS5_PT6_ll16rocsparse_order_21rocsparse_index_base_b
		.amdhsa_group_segment_fixed_size 1024
		.amdhsa_private_segment_fixed_size 0
		.amdhsa_kernarg_size 392
		.amdhsa_user_sgpr_count 15
		.amdhsa_user_sgpr_dispatch_ptr 0
		.amdhsa_user_sgpr_queue_ptr 0
		.amdhsa_user_sgpr_kernarg_segment_ptr 1
		.amdhsa_user_sgpr_dispatch_id 0
		.amdhsa_user_sgpr_private_segment_size 0
		.amdhsa_wavefront_size32 1
		.amdhsa_uses_dynamic_stack 0
		.amdhsa_enable_private_segment 0
		.amdhsa_system_sgpr_workgroup_id_x 1
		.amdhsa_system_sgpr_workgroup_id_y 0
		.amdhsa_system_sgpr_workgroup_id_z 0
		.amdhsa_system_sgpr_workgroup_info 0
		.amdhsa_system_vgpr_workitem_id 0
		.amdhsa_next_free_vgpr 39
		.amdhsa_next_free_sgpr 26
		.amdhsa_reserve_vcc 1
		.amdhsa_float_round_mode_32 0
		.amdhsa_float_round_mode_16_64 0
		.amdhsa_float_denorm_mode_32 3
		.amdhsa_float_denorm_mode_16_64 3
		.amdhsa_dx10_clamp 1
		.amdhsa_ieee_mode 1
		.amdhsa_fp16_overflow 0
		.amdhsa_workgroup_processor_mode 1
		.amdhsa_memory_ordered 1
		.amdhsa_forward_progress 0
		.amdhsa_shared_vgpr_count 0
		.amdhsa_exception_fp_ieee_invalid_op 0
		.amdhsa_exception_fp_denorm_src 0
		.amdhsa_exception_fp_ieee_div_zero 0
		.amdhsa_exception_fp_ieee_overflow 0
		.amdhsa_exception_fp_ieee_underflow 0
		.amdhsa_exception_fp_ieee_inexact 0
		.amdhsa_exception_int_div_zero 0
	.end_amdhsa_kernel
	.section	.text._ZN9rocsparseL29bsrmmnt_small_blockdim_kernelILj64ELj32ELj2EliffffEEv20rocsparse_direction_T3_S2_llNS_24const_host_device_scalarIT7_EEPKT2_PKS2_PKT4_PKT5_llS5_PT6_ll16rocsparse_order_21rocsparse_index_base_b,"axG",@progbits,_ZN9rocsparseL29bsrmmnt_small_blockdim_kernelILj64ELj32ELj2EliffffEEv20rocsparse_direction_T3_S2_llNS_24const_host_device_scalarIT7_EEPKT2_PKS2_PKT4_PKT5_llS5_PT6_ll16rocsparse_order_21rocsparse_index_base_b,comdat
.Lfunc_end27:
	.size	_ZN9rocsparseL29bsrmmnt_small_blockdim_kernelILj64ELj32ELj2EliffffEEv20rocsparse_direction_T3_S2_llNS_24const_host_device_scalarIT7_EEPKT2_PKS2_PKT4_PKT5_llS5_PT6_ll16rocsparse_order_21rocsparse_index_base_b, .Lfunc_end27-_ZN9rocsparseL29bsrmmnt_small_blockdim_kernelILj64ELj32ELj2EliffffEEv20rocsparse_direction_T3_S2_llNS_24const_host_device_scalarIT7_EEPKT2_PKS2_PKT4_PKT5_llS5_PT6_ll16rocsparse_order_21rocsparse_index_base_b
                                        ; -- End function
	.section	.AMDGPU.csdata,"",@progbits
; Kernel info:
; codeLenInByte = 1640
; NumSgprs: 28
; NumVgprs: 39
; ScratchSize: 0
; MemoryBound: 0
; FloatMode: 240
; IeeeMode: 1
; LDSByteSize: 1024 bytes/workgroup (compile time only)
; SGPRBlocks: 3
; VGPRBlocks: 4
; NumSGPRsForWavesPerEU: 28
; NumVGPRsForWavesPerEU: 39
; Occupancy: 16
; WaveLimiterHint : 0
; COMPUTE_PGM_RSRC2:SCRATCH_EN: 0
; COMPUTE_PGM_RSRC2:USER_SGPR: 15
; COMPUTE_PGM_RSRC2:TRAP_HANDLER: 0
; COMPUTE_PGM_RSRC2:TGID_X_EN: 1
; COMPUTE_PGM_RSRC2:TGID_Y_EN: 0
; COMPUTE_PGM_RSRC2:TGID_Z_EN: 0
; COMPUTE_PGM_RSRC2:TIDIG_COMP_CNT: 0
	.section	.text._ZN9rocsparseL29bsrmmnt_small_blockdim_kernelILj64ELj64ELj2EliffffEEv20rocsparse_direction_T3_S2_llNS_24const_host_device_scalarIT7_EEPKT2_PKS2_PKT4_PKT5_llS5_PT6_ll16rocsparse_order_21rocsparse_index_base_b,"axG",@progbits,_ZN9rocsparseL29bsrmmnt_small_blockdim_kernelILj64ELj64ELj2EliffffEEv20rocsparse_direction_T3_S2_llNS_24const_host_device_scalarIT7_EEPKT2_PKS2_PKT4_PKT5_llS5_PT6_ll16rocsparse_order_21rocsparse_index_base_b,comdat
	.globl	_ZN9rocsparseL29bsrmmnt_small_blockdim_kernelILj64ELj64ELj2EliffffEEv20rocsparse_direction_T3_S2_llNS_24const_host_device_scalarIT7_EEPKT2_PKS2_PKT4_PKT5_llS5_PT6_ll16rocsparse_order_21rocsparse_index_base_b ; -- Begin function _ZN9rocsparseL29bsrmmnt_small_blockdim_kernelILj64ELj64ELj2EliffffEEv20rocsparse_direction_T3_S2_llNS_24const_host_device_scalarIT7_EEPKT2_PKS2_PKT4_PKT5_llS5_PT6_ll16rocsparse_order_21rocsparse_index_base_b
	.p2align	8
	.type	_ZN9rocsparseL29bsrmmnt_small_blockdim_kernelILj64ELj64ELj2EliffffEEv20rocsparse_direction_T3_S2_llNS_24const_host_device_scalarIT7_EEPKT2_PKS2_PKT4_PKT5_llS5_PT6_ll16rocsparse_order_21rocsparse_index_base_b,@function
_ZN9rocsparseL29bsrmmnt_small_blockdim_kernelILj64ELj64ELj2EliffffEEv20rocsparse_direction_T3_S2_llNS_24const_host_device_scalarIT7_EEPKT2_PKS2_PKT4_PKT5_llS5_PT6_ll16rocsparse_order_21rocsparse_index_base_b: ; @_ZN9rocsparseL29bsrmmnt_small_blockdim_kernelILj64ELj64ELj2EliffffEEv20rocsparse_direction_T3_S2_llNS_24const_host_device_scalarIT7_EEPKT2_PKS2_PKT4_PKT5_llS5_PT6_ll16rocsparse_order_21rocsparse_index_base_b
; %bb.0:
	s_clause 0x2
	s_load_b128 s[16:19], s[0:1], 0x78
	s_load_b64 s[2:3], s[0:1], 0x20
	s_load_b64 s[24:25], s[0:1], 0x58
	s_waitcnt lgkmcnt(0)
	s_bitcmp1_b32 s18, 0
	s_cselect_b32 s4, -1, 0
	s_delay_alu instid0(SALU_CYCLE_1)
	s_and_b32 vcc_lo, exec_lo, s4
	s_xor_b32 s4, s4, -1
	s_cbranch_vccnz .LBB28_2
; %bb.1:
	s_load_b32 s2, s[2:3], 0x0
.LBB28_2:
	s_and_not1_b32 vcc_lo, exec_lo, s4
	s_cbranch_vccnz .LBB28_4
; %bb.3:
	s_load_b32 s24, s[24:25], 0x0
.LBB28_4:
	s_waitcnt lgkmcnt(0)
	v_cmp_eq_f32_e64 s3, s2, 0
	v_cmp_eq_f32_e64 s4, s24, 1.0
	s_delay_alu instid0(VALU_DEP_1) | instskip(NEXT) | instid1(SALU_CYCLE_1)
	s_and_b32 s3, s3, s4
	s_and_b32 vcc_lo, exec_lo, s3
	s_cbranch_vccnz .LBB28_30
; %bb.5:
	s_clause 0x1
	s_load_b32 s3, s[0:1], 0x94
	s_load_b128 s[20:23], s[0:1], 0x0
	s_waitcnt lgkmcnt(0)
	s_and_b32 s3, s3, 0xffff
	s_delay_alu instid0(SALU_CYCLE_1) | instskip(SKIP_1) | instid1(VALU_DEP_1)
	v_mad_u64_u32 v[1:2], null, s15, s3, v[0:1]
	s_mov_b32 s3, exec_lo
	v_lshrrev_b32_e32 v2, 7, v1
	s_delay_alu instid0(VALU_DEP_1)
	v_cmpx_gt_i32_e64 s21, v2
	s_cbranch_execz .LBB28_30
; %bb.6:
	s_cmp_lt_i32 s22, 1
	s_cbranch_scc1 .LBB28_30
; %bb.7:
	s_load_b256 s[4:11], s[0:1], 0x28
	v_lshlrev_b32_e32 v2, 3, v2
	s_load_b128 s[12:15], s[0:1], 0x60
	v_lshrrev_b32_e32 v4, 6, v1
	s_cmp_lg_u32 s16, 1
	v_lshl_or_b32 v11, v0, 2, 0x300
	s_cselect_b32 s16, -1, 0
	s_cmp_eq_u32 s20, 0
	v_cmp_neq_f32_e64 s3, s24, 0
	s_waitcnt lgkmcnt(0)
	global_load_b128 v[5:8], v2, s[4:5]
	s_load_b64 s[4:5], s[0:1], 0x48
	v_mad_u64_u32 v[2:3], null, v4, s14, 0
	s_cselect_b32 s1, -1, 0
	s_delay_alu instid0(SALU_CYCLE_1) | instskip(SKIP_1) | instid1(VALU_DEP_2)
	v_cndmask_b32_e64 v17, 0, 1, s1
	s_and_b32 s1, s1, exec_lo
	v_mad_u64_u32 v[9:10], null, v4, s15, v[3:4]
	v_bfe_u32 v10, v1, 6, 1
	s_delay_alu instid0(VALU_DEP_1) | instskip(NEXT) | instid1(VALU_DEP_3)
	v_lshlrev_b32_e32 v17, v17, v10
	v_mov_b32_e32 v3, v9
	v_mul_u32_u24_e32 v9, 3, v0
	s_delay_alu instid0(VALU_DEP_2) | instskip(NEXT) | instid1(VALU_DEP_2)
	v_lshlrev_b64 v[1:2], 2, v[2:3]
	v_lshlrev_b32_e32 v12, 2, v9
	v_lshlrev_b32_e32 v9, 2, v4
	s_delay_alu instid0(VALU_DEP_3) | instskip(NEXT) | instid1(VALU_DEP_4)
	v_add_co_u32 v13, vcc_lo, s12, v1
	v_add_co_ci_u32_e32 v14, vcc_lo, s13, v2, vcc_lo
	s_delay_alu instid0(VALU_DEP_3) | instskip(NEXT) | instid1(VALU_DEP_1)
	v_add_co_u32 v15, s12, s12, v9
	v_add_co_ci_u32_e64 v16, null, s13, 0, s12
	s_mov_b32 s12, 0
	s_cselect_b32 s13, 1, 2
	s_waitcnt vmcnt(0)
	v_sub_co_u32 v1, vcc_lo, v5, s17
	v_subrev_co_ci_u32_e32 v2, vcc_lo, 0, v6, vcc_lo
	v_sub_co_u32 v3, vcc_lo, v7, s17
	v_cmp_lt_i64_e64 s0, v[5:6], v[7:8]
	v_subrev_co_ci_u32_e32 v4, vcc_lo, 0, v8, vcc_lo
	s_branch .LBB28_9
.LBB28_8:                               ;   in Loop: Header=BB28_9 Depth=1
	s_or_b32 exec_lo, exec_lo, s1
	s_add_i32 s12, s12, 64
	s_delay_alu instid0(SALU_CYCLE_1)
	s_cmp_lt_i32 s12, s22
	s_cbranch_scc0 .LBB28_30
.LBB28_9:                               ; =>This Loop Header: Depth=1
                                        ;     Child Loop BB28_12 Depth 2
                                        ;       Child Loop BB28_16 Depth 3
	v_or_b32_e32 v5, s12, v0
	v_mov_b32_e32 v18, 0
	s_delay_alu instid0(VALU_DEP_2)
	v_ashrrev_i32_e32 v6, 31, v5
	s_and_saveexec_b32 s18, s0
	s_cbranch_execz .LBB28_18
; %bb.10:                               ;   in Loop: Header=BB28_9 Depth=1
	s_delay_alu instid0(VALU_DEP_1) | instskip(SKIP_3) | instid1(VALU_DEP_3)
	v_lshlrev_b64 v[7:8], 2, v[5:6]
	v_cmp_gt_i32_e32 vcc_lo, s22, v5
	v_mov_b32_e32 v18, 0
	s_mov_b32 s19, 0
	v_add_co_u32 v19, s1, s10, v7
	s_delay_alu instid0(VALU_DEP_1)
	v_add_co_ci_u32_e64 v20, s1, s11, v8, s1
	v_dual_mov_b32 v8, v2 :: v_dual_mov_b32 v7, v1
	s_branch .LBB28_12
.LBB28_11:                              ;   in Loop: Header=BB28_12 Depth=2
	s_or_b32 exec_lo, exec_lo, s20
	v_add_co_u32 v7, s1, v7, 64
	s_delay_alu instid0(VALU_DEP_1) | instskip(NEXT) | instid1(VALU_DEP_1)
	v_add_co_ci_u32_e64 v8, s1, 0, v8, s1
	v_cmp_ge_i64_e64 s1, v[7:8], v[3:4]
	s_delay_alu instid0(VALU_DEP_1) | instskip(NEXT) | instid1(SALU_CYCLE_1)
	s_or_b32 s19, s1, s19
	s_and_not1_b32 exec_lo, exec_lo, s19
	s_cbranch_execz .LBB28_17
.LBB28_12:                              ;   Parent Loop BB28_9 Depth=1
                                        ; =>  This Loop Header: Depth=2
                                        ;       Child Loop BB28_16 Depth 3
	s_delay_alu instid0(VALU_DEP_1) | instskip(NEXT) | instid1(VALU_DEP_1)
	v_add_co_u32 v9, s1, v7, v0
	v_add_co_ci_u32_e64 v10, s1, 0, v8, s1
	v_dual_mov_b32 v22, 0 :: v_dual_mov_b32 v21, 0
	v_mov_b32_e32 v23, 0
	s_mov_b32 s20, exec_lo
	s_delay_alu instid0(VALU_DEP_3)
	v_cmpx_lt_i64_e64 v[9:10], v[3:4]
	s_cbranch_execz .LBB28_14
; %bb.13:                               ;   in Loop: Header=BB28_12 Depth=2
	v_lshlrev_b64 v[9:10], 2, v[9:10]
	s_delay_alu instid0(VALU_DEP_1) | instskip(NEXT) | instid1(VALU_DEP_2)
	v_or_b32_e32 v22, 0, v10
	v_or_b32_e32 v21, v9, v17
	v_add_co_u32 v9, s1, s6, v9
	s_delay_alu instid0(VALU_DEP_1) | instskip(NEXT) | instid1(VALU_DEP_4)
	v_add_co_ci_u32_e64 v10, s1, s7, v10, s1
	v_or_b32_e32 v24, 0, v22
	s_delay_alu instid0(VALU_DEP_4) | instskip(SKIP_4) | instid1(VALU_DEP_1)
	v_or_b32_e32 v23, s13, v21
	v_lshlrev_b64 v[21:22], 2, v[21:22]
	global_load_b32 v25, v[9:10], off
	v_lshlrev_b64 v[9:10], 2, v[23:24]
	v_add_co_u32 v21, s1, s8, v21
	v_add_co_ci_u32_e64 v22, s1, s9, v22, s1
	s_delay_alu instid0(VALU_DEP_3) | instskip(NEXT) | instid1(VALU_DEP_1)
	v_add_co_u32 v9, s1, s8, v9
	v_add_co_ci_u32_e64 v10, s1, s9, v10, s1
	s_clause 0x1
	global_load_b32 v21, v[21:22], off
	global_load_b32 v23, v[9:10], off
	s_waitcnt vmcnt(2)
	v_subrev_nc_u32_e32 v9, s17, v25
	s_delay_alu instid0(VALU_DEP_1)
	v_lshlrev_b32_e32 v22, 1, v9
.LBB28_14:                              ;   in Loop: Header=BB28_12 Depth=2
	s_or_b32 exec_lo, exec_lo, s20
	ds_store_b32 v11, v22
	s_waitcnt vmcnt(0)
	ds_store_2addr_b32 v12, v21, v23 offset1:1
	s_waitcnt lgkmcnt(0)
	s_waitcnt_vscnt null, 0x0
	s_barrier
	buffer_gl0_inv
	s_and_saveexec_b32 s20, vcc_lo
	s_cbranch_execz .LBB28_11
; %bb.15:                               ;   in Loop: Header=BB28_12 Depth=2
	v_mov_b32_e32 v9, 0
	s_mov_b32 s21, 0
.LBB28_16:                              ;   Parent Loop BB28_9 Depth=1
                                        ;     Parent Loop BB28_12 Depth=2
                                        ; =>    This Inner Loop Header: Depth=3
	s_delay_alu instid0(SALU_CYCLE_1) | instskip(SKIP_1) | instid1(SALU_CYCLE_1)
	v_add_nc_u32_e64 v10, 0x300, s21
	s_add_i32 s21, s21, 8
	s_cmpk_lg_i32 s21, 0x100
	ds_load_b64 v[21:22], v10
	s_waitcnt lgkmcnt(0)
	v_ashrrev_i32_e32 v10, 31, v21
	v_mul_lo_u32 v29, v21, s5
	v_mad_u64_u32 v[23:24], null, v21, s4, 0
	v_ashrrev_i32_e32 v28, 31, v22
	s_delay_alu instid0(VALU_DEP_4) | instskip(SKIP_4) | instid1(VALU_DEP_4)
	v_mul_lo_u32 v10, v10, s4
	v_add_nc_u32_e32 v31, 1, v22
	v_mul_lo_u32 v30, v22, s5
	v_mad_u64_u32 v[25:26], null, v22, s4, 0
	v_mul_lo_u32 v34, v28, s4
	v_ashrrev_i32_e32 v35, 31, v31
	v_mul_lo_u32 v36, v31, s5
	v_add3_u32 v24, v24, v29, v10
	s_delay_alu instid0(VALU_DEP_4) | instskip(NEXT) | instid1(VALU_DEP_2)
	v_add3_u32 v26, v26, v30, v34
	v_lshlrev_b64 v[23:24], 2, v[23:24]
	s_delay_alu instid0(VALU_DEP_2) | instskip(NEXT) | instid1(VALU_DEP_2)
	v_lshlrev_b64 v[25:26], 2, v[25:26]
	v_add_co_u32 v23, s1, v19, v23
	s_delay_alu instid0(VALU_DEP_1) | instskip(SKIP_2) | instid1(VALU_DEP_1)
	v_add_co_ci_u32_e64 v24, s1, v20, v24, s1
	global_load_b32 v10, v[23:24], off
	v_add_nc_u32_e32 v27, 1, v21
	v_ashrrev_i32_e32 v32, 31, v27
	v_mul_lo_u32 v33, v27, s5
	v_mad_u64_u32 v[21:22], null, v27, s4, 0
	v_mad_u64_u32 v[27:28], null, v31, s4, 0
	s_delay_alu instid0(VALU_DEP_4) | instskip(SKIP_1) | instid1(VALU_DEP_2)
	v_mul_lo_u32 v31, v32, s4
	v_mul_lo_u32 v32, v35, s4
	v_add3_u32 v22, v22, v33, v31
	s_delay_alu instid0(VALU_DEP_2) | instskip(NEXT) | instid1(VALU_DEP_2)
	v_add3_u32 v28, v28, v36, v32
	v_lshlrev_b64 v[21:22], 2, v[21:22]
	s_delay_alu instid0(VALU_DEP_2) | instskip(NEXT) | instid1(VALU_DEP_2)
	v_lshlrev_b64 v[27:28], 2, v[27:28]
	v_add_co_u32 v21, s1, v19, v21
	s_delay_alu instid0(VALU_DEP_1) | instskip(SKIP_1) | instid1(VALU_DEP_1)
	v_add_co_ci_u32_e64 v22, s1, v20, v22, s1
	v_add_co_u32 v23, s1, v19, v25
	v_add_co_ci_u32_e64 v24, s1, v20, v26, s1
	global_load_b32 v25, v[21:22], off
	v_add_co_u32 v21, s1, v19, v27
	s_delay_alu instid0(VALU_DEP_1)
	v_add_co_ci_u32_e64 v22, s1, v20, v28, s1
	s_clause 0x1
	global_load_b32 v26, v[23:24], off
	global_load_b32 v27, v[21:22], off
	ds_load_b64 v[21:22], v9
	ds_load_2addr_b32 v[23:24], v9 offset0:3 offset1:4
	s_waitcnt vmcnt(3) lgkmcnt(1)
	v_dual_fmac_f32 v18, v21, v10 :: v_dual_add_nc_u32 v9, 24, v9
	s_waitcnt vmcnt(2)
	s_delay_alu instid0(VALU_DEP_1) | instskip(SKIP_1) | instid1(VALU_DEP_1)
	v_fmac_f32_e32 v18, v22, v25
	s_waitcnt vmcnt(1) lgkmcnt(0)
	v_fmac_f32_e32 v18, v23, v26
	s_waitcnt vmcnt(0)
	s_delay_alu instid0(VALU_DEP_1)
	v_fmac_f32_e32 v18, v24, v27
	s_cbranch_scc1 .LBB28_16
	s_branch .LBB28_11
.LBB28_17:                              ;   in Loop: Header=BB28_9 Depth=1
	s_or_b32 exec_lo, exec_lo, s19
.LBB28_18:                              ;   in Loop: Header=BB28_9 Depth=1
	s_delay_alu instid0(SALU_CYCLE_1) | instskip(NEXT) | instid1(SALU_CYCLE_1)
	s_or_b32 exec_lo, exec_lo, s18
	s_mov_b32 s1, exec_lo
	v_cmpx_gt_i32_e64 s22, v5
	s_cbranch_execz .LBB28_8
; %bb.19:                               ;   in Loop: Header=BB28_9 Depth=1
	s_and_b32 vcc_lo, exec_lo, s3
	s_cbranch_vccz .LBB28_25
; %bb.20:                               ;   in Loop: Header=BB28_9 Depth=1
	s_and_b32 vcc_lo, exec_lo, s16
	s_mov_b32 s18, -1
	s_cbranch_vccz .LBB28_22
; %bb.21:                               ;   in Loop: Header=BB28_9 Depth=1
	v_lshlrev_b64 v[7:8], 2, v[5:6]
	v_mul_f32_e32 v10, s2, v18
	s_mov_b32 s18, 0
	s_delay_alu instid0(VALU_DEP_2) | instskip(NEXT) | instid1(VALU_DEP_3)
	v_add_co_u32 v7, vcc_lo, v13, v7
	v_add_co_ci_u32_e32 v8, vcc_lo, v14, v8, vcc_lo
	global_load_b32 v9, v[7:8], off
	s_waitcnt vmcnt(0)
	v_fmac_f32_e32 v10, s24, v9
	global_store_b32 v[7:8], v10, off
.LBB28_22:                              ;   in Loop: Header=BB28_9 Depth=1
	s_and_not1_b32 vcc_lo, exec_lo, s18
	s_cbranch_vccnz .LBB28_24
; %bb.23:                               ;   in Loop: Header=BB28_9 Depth=1
	v_mul_lo_u32 v9, v6, s14
	v_mul_lo_u32 v10, v5, s15
	v_mad_u64_u32 v[7:8], null, v5, s14, 0
	s_delay_alu instid0(VALU_DEP_1) | instskip(SKIP_1) | instid1(VALU_DEP_2)
	v_add3_u32 v8, v8, v10, v9
	v_mul_f32_e32 v10, s2, v18
	v_lshlrev_b64 v[7:8], 2, v[7:8]
	s_delay_alu instid0(VALU_DEP_1) | instskip(NEXT) | instid1(VALU_DEP_2)
	v_add_co_u32 v7, vcc_lo, v15, v7
	v_add_co_ci_u32_e32 v8, vcc_lo, v16, v8, vcc_lo
	global_load_b32 v9, v[7:8], off
	s_waitcnt vmcnt(0)
	v_fmac_f32_e32 v10, s24, v9
	global_store_b32 v[7:8], v10, off
.LBB28_24:                              ;   in Loop: Header=BB28_9 Depth=1
	s_cbranch_execnz .LBB28_8
	s_branch .LBB28_26
.LBB28_25:                              ;   in Loop: Header=BB28_9 Depth=1
.LBB28_26:                              ;   in Loop: Header=BB28_9 Depth=1
	v_mul_f32_e32 v7, s2, v18
	s_and_b32 vcc_lo, exec_lo, s16
	s_mov_b32 s18, -1
	s_cbranch_vccz .LBB28_28
; %bb.27:                               ;   in Loop: Header=BB28_9 Depth=1
	v_lshlrev_b64 v[8:9], 2, v[5:6]
	s_mov_b32 s18, 0
	s_delay_alu instid0(VALU_DEP_1) | instskip(NEXT) | instid1(VALU_DEP_2)
	v_add_co_u32 v8, vcc_lo, v13, v8
	v_add_co_ci_u32_e32 v9, vcc_lo, v14, v9, vcc_lo
	global_store_b32 v[8:9], v7, off
.LBB28_28:                              ;   in Loop: Header=BB28_9 Depth=1
	s_and_not1_b32 vcc_lo, exec_lo, s18
	s_cbranch_vccnz .LBB28_8
; %bb.29:                               ;   in Loop: Header=BB28_9 Depth=1
	v_mul_lo_u32 v6, v6, s14
	v_mul_lo_u32 v10, v5, s15
	v_mad_u64_u32 v[8:9], null, v5, s14, 0
	s_delay_alu instid0(VALU_DEP_1) | instskip(NEXT) | instid1(VALU_DEP_1)
	v_add3_u32 v9, v9, v10, v6
	v_lshlrev_b64 v[5:6], 2, v[8:9]
	s_delay_alu instid0(VALU_DEP_1) | instskip(NEXT) | instid1(VALU_DEP_2)
	v_add_co_u32 v5, vcc_lo, v15, v5
	v_add_co_ci_u32_e32 v6, vcc_lo, v16, v6, vcc_lo
	global_store_b32 v[5:6], v7, off
	s_branch .LBB28_8
.LBB28_30:
	s_nop 0
	s_sendmsg sendmsg(MSG_DEALLOC_VGPRS)
	s_endpgm
	.section	.rodata,"a",@progbits
	.p2align	6, 0x0
	.amdhsa_kernel _ZN9rocsparseL29bsrmmnt_small_blockdim_kernelILj64ELj64ELj2EliffffEEv20rocsparse_direction_T3_S2_llNS_24const_host_device_scalarIT7_EEPKT2_PKS2_PKT4_PKT5_llS5_PT6_ll16rocsparse_order_21rocsparse_index_base_b
		.amdhsa_group_segment_fixed_size 1024
		.amdhsa_private_segment_fixed_size 0
		.amdhsa_kernarg_size 392
		.amdhsa_user_sgpr_count 15
		.amdhsa_user_sgpr_dispatch_ptr 0
		.amdhsa_user_sgpr_queue_ptr 0
		.amdhsa_user_sgpr_kernarg_segment_ptr 1
		.amdhsa_user_sgpr_dispatch_id 0
		.amdhsa_user_sgpr_private_segment_size 0
		.amdhsa_wavefront_size32 1
		.amdhsa_uses_dynamic_stack 0
		.amdhsa_enable_private_segment 0
		.amdhsa_system_sgpr_workgroup_id_x 1
		.amdhsa_system_sgpr_workgroup_id_y 0
		.amdhsa_system_sgpr_workgroup_id_z 0
		.amdhsa_system_sgpr_workgroup_info 0
		.amdhsa_system_vgpr_workitem_id 0
		.amdhsa_next_free_vgpr 37
		.amdhsa_next_free_sgpr 26
		.amdhsa_reserve_vcc 1
		.amdhsa_float_round_mode_32 0
		.amdhsa_float_round_mode_16_64 0
		.amdhsa_float_denorm_mode_32 3
		.amdhsa_float_denorm_mode_16_64 3
		.amdhsa_dx10_clamp 1
		.amdhsa_ieee_mode 1
		.amdhsa_fp16_overflow 0
		.amdhsa_workgroup_processor_mode 1
		.amdhsa_memory_ordered 1
		.amdhsa_forward_progress 0
		.amdhsa_shared_vgpr_count 0
		.amdhsa_exception_fp_ieee_invalid_op 0
		.amdhsa_exception_fp_denorm_src 0
		.amdhsa_exception_fp_ieee_div_zero 0
		.amdhsa_exception_fp_ieee_overflow 0
		.amdhsa_exception_fp_ieee_underflow 0
		.amdhsa_exception_fp_ieee_inexact 0
		.amdhsa_exception_int_div_zero 0
	.end_amdhsa_kernel
	.section	.text._ZN9rocsparseL29bsrmmnt_small_blockdim_kernelILj64ELj64ELj2EliffffEEv20rocsparse_direction_T3_S2_llNS_24const_host_device_scalarIT7_EEPKT2_PKS2_PKT4_PKT5_llS5_PT6_ll16rocsparse_order_21rocsparse_index_base_b,"axG",@progbits,_ZN9rocsparseL29bsrmmnt_small_blockdim_kernelILj64ELj64ELj2EliffffEEv20rocsparse_direction_T3_S2_llNS_24const_host_device_scalarIT7_EEPKT2_PKS2_PKT4_PKT5_llS5_PT6_ll16rocsparse_order_21rocsparse_index_base_b,comdat
.Lfunc_end28:
	.size	_ZN9rocsparseL29bsrmmnt_small_blockdim_kernelILj64ELj64ELj2EliffffEEv20rocsparse_direction_T3_S2_llNS_24const_host_device_scalarIT7_EEPKT2_PKS2_PKT4_PKT5_llS5_PT6_ll16rocsparse_order_21rocsparse_index_base_b, .Lfunc_end28-_ZN9rocsparseL29bsrmmnt_small_blockdim_kernelILj64ELj64ELj2EliffffEEv20rocsparse_direction_T3_S2_llNS_24const_host_device_scalarIT7_EEPKT2_PKS2_PKT4_PKT5_llS5_PT6_ll16rocsparse_order_21rocsparse_index_base_b
                                        ; -- End function
	.section	.AMDGPU.csdata,"",@progbits
; Kernel info:
; codeLenInByte = 1616
; NumSgprs: 28
; NumVgprs: 37
; ScratchSize: 0
; MemoryBound: 0
; FloatMode: 240
; IeeeMode: 1
; LDSByteSize: 1024 bytes/workgroup (compile time only)
; SGPRBlocks: 3
; VGPRBlocks: 4
; NumSGPRsForWavesPerEU: 28
; NumVGPRsForWavesPerEU: 37
; Occupancy: 16
; WaveLimiterHint : 0
; COMPUTE_PGM_RSRC2:SCRATCH_EN: 0
; COMPUTE_PGM_RSRC2:USER_SGPR: 15
; COMPUTE_PGM_RSRC2:TRAP_HANDLER: 0
; COMPUTE_PGM_RSRC2:TGID_X_EN: 1
; COMPUTE_PGM_RSRC2:TGID_Y_EN: 0
; COMPUTE_PGM_RSRC2:TGID_Z_EN: 0
; COMPUTE_PGM_RSRC2:TIDIG_COMP_CNT: 0
	.section	.text._ZN9rocsparseL29bsrmmnt_small_blockdim_kernelILj64ELj8ELj2EllffffEEv20rocsparse_direction_T3_S2_llNS_24const_host_device_scalarIT7_EEPKT2_PKS2_PKT4_PKT5_llS5_PT6_ll16rocsparse_order_21rocsparse_index_base_b,"axG",@progbits,_ZN9rocsparseL29bsrmmnt_small_blockdim_kernelILj64ELj8ELj2EllffffEEv20rocsparse_direction_T3_S2_llNS_24const_host_device_scalarIT7_EEPKT2_PKS2_PKT4_PKT5_llS5_PT6_ll16rocsparse_order_21rocsparse_index_base_b,comdat
	.globl	_ZN9rocsparseL29bsrmmnt_small_blockdim_kernelILj64ELj8ELj2EllffffEEv20rocsparse_direction_T3_S2_llNS_24const_host_device_scalarIT7_EEPKT2_PKS2_PKT4_PKT5_llS5_PT6_ll16rocsparse_order_21rocsparse_index_base_b ; -- Begin function _ZN9rocsparseL29bsrmmnt_small_blockdim_kernelILj64ELj8ELj2EllffffEEv20rocsparse_direction_T3_S2_llNS_24const_host_device_scalarIT7_EEPKT2_PKS2_PKT4_PKT5_llS5_PT6_ll16rocsparse_order_21rocsparse_index_base_b
	.p2align	8
	.type	_ZN9rocsparseL29bsrmmnt_small_blockdim_kernelILj64ELj8ELj2EllffffEEv20rocsparse_direction_T3_S2_llNS_24const_host_device_scalarIT7_EEPKT2_PKS2_PKT4_PKT5_llS5_PT6_ll16rocsparse_order_21rocsparse_index_base_b,@function
_ZN9rocsparseL29bsrmmnt_small_blockdim_kernelILj64ELj8ELj2EllffffEEv20rocsparse_direction_T3_S2_llNS_24const_host_device_scalarIT7_EEPKT2_PKS2_PKT4_PKT5_llS5_PT6_ll16rocsparse_order_21rocsparse_index_base_b: ; @_ZN9rocsparseL29bsrmmnt_small_blockdim_kernelILj64ELj8ELj2EllffffEEv20rocsparse_direction_T3_S2_llNS_24const_host_device_scalarIT7_EEPKT2_PKS2_PKT4_PKT5_llS5_PT6_ll16rocsparse_order_21rocsparse_index_base_b
; %bb.0:
	s_clause 0x2
	s_load_b128 s[20:23], s[0:1], 0x80
	s_load_b64 s[2:3], s[0:1], 0x28
	s_load_b64 s[24:25], s[0:1], 0x60
	s_waitcnt lgkmcnt(0)
	s_bitcmp1_b32 s22, 0
	s_cselect_b32 s4, -1, 0
	s_delay_alu instid0(SALU_CYCLE_1)
	s_and_b32 vcc_lo, exec_lo, s4
	s_xor_b32 s4, s4, -1
	s_cbranch_vccnz .LBB29_2
; %bb.1:
	s_load_b32 s2, s[2:3], 0x0
.LBB29_2:
	s_and_not1_b32 vcc_lo, exec_lo, s4
	s_cbranch_vccnz .LBB29_4
; %bb.3:
	s_load_b32 s24, s[24:25], 0x0
.LBB29_4:
	s_waitcnt lgkmcnt(0)
	v_cmp_eq_f32_e64 s3, s2, 0
	v_cmp_eq_f32_e64 s4, s24, 1.0
	s_delay_alu instid0(VALU_DEP_1) | instskip(NEXT) | instid1(SALU_CYCLE_1)
	s_and_b32 s3, s3, s4
	s_and_b32 vcc_lo, exec_lo, s3
	s_cbranch_vccnz .LBB29_30
; %bb.5:
	s_clause 0x1
	s_load_b32 s3, s[0:1], 0x9c
	s_load_b128 s[16:19], s[0:1], 0x8
	v_mov_b32_e32 v3, 0
	s_waitcnt lgkmcnt(0)
	s_and_b32 s3, s3, 0xffff
	s_delay_alu instid0(SALU_CYCLE_1) | instskip(SKIP_1) | instid1(VALU_DEP_1)
	v_mad_u64_u32 v[1:2], null, s15, s3, v[0:1]
	s_mov_b32 s3, exec_lo
	v_lshrrev_b32_e32 v2, 4, v1
	s_delay_alu instid0(VALU_DEP_1)
	v_cmpx_gt_i64_e64 s[16:17], v[2:3]
	s_cbranch_execz .LBB29_30
; %bb.6:
	v_cmp_lt_i64_e64 s3, s[18:19], 1
	s_delay_alu instid0(VALU_DEP_1)
	s_and_b32 vcc_lo, exec_lo, s3
	s_cbranch_vccnz .LBB29_30
; %bb.7:
	s_load_b256 s[4:11], s[0:1], 0x30
	v_lshlrev_b32_e32 v2, 3, v2
	s_load_b128 s[12:15], s[0:1], 0x68
	v_lshrrev_b32_e32 v12, 3, v1
	v_bfe_u32 v8, v1, 3, 1
	v_dual_mov_b32 v9, 0 :: v_dual_and_b32 v14, 7, v0
	v_lshrrev_b32_e32 v0, 3, v0
	s_cmp_lg_u32 s20, 1
	v_cmp_neq_f32_e64 s20, s24, 0
	s_cselect_b32 s22, -1, 0
	s_mov_b32 s3, s21
	v_lshl_add_u32 v15, v0, 6, 0x300
	v_mul_u32_u24_e32 v16, 0x60, v0
	s_delay_alu instid0(VALU_DEP_2)
	v_lshl_or_b32 v17, v14, 3, v15
	s_waitcnt lgkmcnt(0)
	global_load_b128 v[4:7], v2, s[4:5]
	s_load_b64 s[4:5], s[0:1], 0x50
	v_mad_u64_u32 v[2:3], null, v12, s14, 0
	s_load_b32 s0, s[0:1], 0x0
	s_delay_alu instid0(VALU_DEP_1) | instskip(NEXT) | instid1(VALU_DEP_1)
	v_mov_b32_e32 v1, v3
	v_mad_u64_u32 v[10:11], null, v12, s15, v[1:2]
	v_mul_u32_u24_e32 v1, 3, v14
	s_delay_alu instid0(VALU_DEP_1) | instskip(NEXT) | instid1(VALU_DEP_3)
	v_lshlrev_b32_e32 v1, 2, v1
	v_dual_mov_b32 v3, v10 :: v_dual_lshlrev_b32 v10, 2, v12
	s_waitcnt lgkmcnt(0)
	s_cmp_eq_u32 s0, 0
	s_delay_alu instid0(VALU_DEP_2) | instskip(NEXT) | instid1(VALU_DEP_2)
	v_mad_u32_u24 v18, 0x60, v0, v1
	v_lshlrev_b64 v[0:1], 2, v[2:3]
	s_cselect_b32 s1, -1, 0
	v_add_co_u32 v19, s0, s12, v10
	v_cndmask_b32_e64 v10, 0, 1, s1
	v_add_co_ci_u32_e64 v20, null, s13, 0, s0
	s_delay_alu instid0(VALU_DEP_4)
	v_add_co_u32 v21, vcc_lo, s12, v0
	v_add_co_ci_u32_e32 v22, vcc_lo, s13, v1, vcc_lo
	s_and_b32 s1, s1, exec_lo
	s_mov_b64 s[12:13], 0
	s_waitcnt vmcnt(0)
	v_sub_co_u32 v0, vcc_lo, v4, s21
	v_subrev_co_ci_u32_e32 v1, vcc_lo, 0, v5, vcc_lo
	v_sub_co_u32 v2, vcc_lo, v6, s21
	v_cmp_lt_i64_e64 s0, v[4:5], v[6:7]
	v_lshlrev_b64 v[4:5], v10, v[8:9]
	v_subrev_co_ci_u32_e32 v3, vcc_lo, 0, v7, vcc_lo
	s_cselect_b32 s21, 1, 2
	s_lshl_b64 s[16:17], s[4:5], 2
	s_branch .LBB29_9
.LBB29_8:                               ;   in Loop: Header=BB29_9 Depth=1
	s_or_b32 exec_lo, exec_lo, s1
	s_add_u32 s12, s12, 8
	s_addc_u32 s13, s13, 0
	s_delay_alu instid0(SALU_CYCLE_1) | instskip(NEXT) | instid1(VALU_DEP_1)
	v_cmp_lt_i64_e64 s1, s[12:13], s[18:19]
	s_and_b32 vcc_lo, exec_lo, s1
	s_cbranch_vccz .LBB29_30
.LBB29_9:                               ; =>This Loop Header: Depth=1
                                        ;     Child Loop BB29_12 Depth 2
                                        ;       Child Loop BB29_16 Depth 3
	v_or_b32_e64 v7, s13, 0
	v_or_b32_e32 v6, s12, v14
	v_mov_b32_e32 v23, 0
	s_and_saveexec_b32 s23, s0
	s_cbranch_execz .LBB29_18
; %bb.10:                               ;   in Loop: Header=BB29_9 Depth=1
	s_delay_alu instid0(VALU_DEP_2) | instskip(SKIP_3) | instid1(VALU_DEP_3)
	v_lshlrev_b64 v[8:9], 2, v[6:7]
	v_cmp_gt_i64_e32 vcc_lo, s[18:19], v[6:7]
	v_mov_b32_e32 v23, 0
	s_mov_b32 s25, 0
	v_add_co_u32 v24, s1, s10, v8
	s_delay_alu instid0(VALU_DEP_1)
	v_add_co_ci_u32_e64 v25, s1, s11, v9, s1
	v_dual_mov_b32 v9, v1 :: v_dual_mov_b32 v8, v0
	s_branch .LBB29_12
.LBB29_11:                              ;   in Loop: Header=BB29_12 Depth=2
	s_or_b32 exec_lo, exec_lo, s26
	v_add_co_u32 v8, s1, v8, 8
	s_delay_alu instid0(VALU_DEP_1) | instskip(NEXT) | instid1(VALU_DEP_1)
	v_add_co_ci_u32_e64 v9, s1, 0, v9, s1
	v_cmp_ge_i64_e64 s1, v[8:9], v[2:3]
	s_delay_alu instid0(VALU_DEP_1) | instskip(NEXT) | instid1(SALU_CYCLE_1)
	s_or_b32 s25, s1, s25
	s_and_not1_b32 exec_lo, exec_lo, s25
	s_cbranch_execz .LBB29_17
.LBB29_12:                              ;   Parent Loop BB29_9 Depth=1
                                        ; =>  This Loop Header: Depth=2
                                        ;       Child Loop BB29_16 Depth 3
	s_delay_alu instid0(VALU_DEP_1) | instskip(SKIP_1) | instid1(VALU_DEP_3)
	v_add_co_u32 v10, s1, v8, v14
	v_dual_mov_b32 v12, 0 :: v_dual_mov_b32 v27, 0
	v_add_co_ci_u32_e64 v11, s1, 0, v9, s1
	v_dual_mov_b32 v13, 0 :: v_dual_mov_b32 v26, 0
	s_mov_b32 s26, exec_lo
	s_delay_alu instid0(VALU_DEP_2)
	v_cmpx_lt_i64_e64 v[10:11], v[2:3]
	s_cbranch_execz .LBB29_14
; %bb.13:                               ;   in Loop: Header=BB29_12 Depth=2
	v_lshlrev_b64 v[12:13], 2, v[10:11]
	v_lshlrev_b64 v[10:11], 3, v[10:11]
	s_delay_alu instid0(VALU_DEP_2) | instskip(NEXT) | instid1(VALU_DEP_3)
	v_or_b32_e32 v13, v13, v5
	v_or_b32_e32 v12, v12, v4
	s_delay_alu instid0(VALU_DEP_3) | instskip(NEXT) | instid1(VALU_DEP_1)
	v_add_co_u32 v10, s1, s6, v10
	v_add_co_ci_u32_e64 v11, s1, s7, v11, s1
	s_delay_alu instid0(VALU_DEP_4) | instskip(NEXT) | instid1(VALU_DEP_4)
	v_or_b32_e32 v27, 0, v13
	v_or_b32_e32 v26, s21, v12
	v_lshlrev_b64 v[12:13], 2, v[12:13]
	global_load_b64 v[10:11], v[10:11], off
	v_lshlrev_b64 v[26:27], 2, v[26:27]
	v_add_co_u32 v12, s1, s8, v12
	s_delay_alu instid0(VALU_DEP_1) | instskip(NEXT) | instid1(VALU_DEP_3)
	v_add_co_ci_u32_e64 v13, s1, s9, v13, s1
	v_add_co_u32 v28, s1, s8, v26
	s_delay_alu instid0(VALU_DEP_1)
	v_add_co_ci_u32_e64 v29, s1, s9, v27, s1
	s_clause 0x1
	global_load_b32 v26, v[12:13], off
	global_load_b32 v27, v[28:29], off
	s_waitcnt vmcnt(2)
	v_sub_co_u32 v10, s1, v10, s3
	s_delay_alu instid0(VALU_DEP_1) | instskip(NEXT) | instid1(VALU_DEP_1)
	v_subrev_co_ci_u32_e64 v11, s1, 0, v11, s1
	v_lshlrev_b64 v[12:13], 1, v[10:11]
.LBB29_14:                              ;   in Loop: Header=BB29_12 Depth=2
	s_or_b32 exec_lo, exec_lo, s26
	ds_store_b64 v17, v[12:13]
	s_waitcnt vmcnt(0)
	ds_store_2addr_b32 v18, v26, v27 offset1:1
	s_waitcnt lgkmcnt(0)
	s_waitcnt_vscnt null, 0x0
	s_barrier
	buffer_gl0_inv
	s_and_saveexec_b32 s26, vcc_lo
	s_cbranch_execz .LBB29_11
; %bb.15:                               ;   in Loop: Header=BB29_12 Depth=2
	v_mov_b32_e32 v10, v16
	s_mov_b32 s27, 0
.LBB29_16:                              ;   Parent Loop BB29_9 Depth=1
                                        ;     Parent Loop BB29_12 Depth=2
                                        ; =>    This Inner Loop Header: Depth=3
	s_delay_alu instid0(SALU_CYCLE_1) | instskip(SKIP_1) | instid1(SALU_CYCLE_1)
	v_add_nc_u32_e32 v11, s27, v15
	s_add_i32 s27, s27, 16
	s_cmp_lg_u32 s27, 64
	ds_load_b128 v[26:29], v11
	s_waitcnt lgkmcnt(0)
	v_mul_lo_u32 v13, v27, s4
	v_mul_lo_u32 v30, v26, s5
	v_mad_u64_u32 v[11:12], null, v26, s4, 0
	v_mul_lo_u32 v29, v29, s4
	v_mul_lo_u32 v31, v28, s5
	v_mad_u64_u32 v[26:27], null, v28, s4, 0
	s_delay_alu instid0(VALU_DEP_4) | instskip(NEXT) | instid1(VALU_DEP_2)
	v_add3_u32 v12, v12, v30, v13
	v_add3_u32 v27, v27, v31, v29
	s_delay_alu instid0(VALU_DEP_2) | instskip(NEXT) | instid1(VALU_DEP_2)
	v_lshlrev_b64 v[11:12], 2, v[11:12]
	v_lshlrev_b64 v[26:27], 2, v[26:27]
	s_delay_alu instid0(VALU_DEP_2) | instskip(NEXT) | instid1(VALU_DEP_1)
	v_add_co_u32 v11, s1, v24, v11
	v_add_co_ci_u32_e64 v12, s1, v25, v12, s1
	global_load_b32 v13, v[11:12], off
	v_add_co_u32 v11, s1, v11, s16
	s_delay_alu instid0(VALU_DEP_1) | instskip(SKIP_1) | instid1(VALU_DEP_1)
	v_add_co_ci_u32_e64 v12, s1, s17, v12, s1
	v_add_co_u32 v26, s1, v24, v26
	v_add_co_ci_u32_e64 v27, s1, v25, v27, s1
	global_load_b32 v28, v[11:12], off
	v_add_co_u32 v11, s1, v26, s16
	s_delay_alu instid0(VALU_DEP_1)
	v_add_co_ci_u32_e64 v12, s1, s17, v27, s1
	s_clause 0x1
	global_load_b32 v29, v[26:27], off
	global_load_b32 v30, v[11:12], off
	ds_load_b64 v[11:12], v10
	ds_load_2addr_b32 v[26:27], v10 offset0:3 offset1:4
	s_waitcnt vmcnt(3) lgkmcnt(1)
	v_dual_fmac_f32 v23, v11, v13 :: v_dual_add_nc_u32 v10, 24, v10
	s_waitcnt vmcnt(2)
	s_delay_alu instid0(VALU_DEP_1) | instskip(SKIP_1) | instid1(VALU_DEP_1)
	v_fmac_f32_e32 v23, v12, v28
	s_waitcnt vmcnt(1) lgkmcnt(0)
	v_fmac_f32_e32 v23, v26, v29
	s_waitcnt vmcnt(0)
	s_delay_alu instid0(VALU_DEP_1)
	v_fmac_f32_e32 v23, v27, v30
	s_cbranch_scc1 .LBB29_16
	s_branch .LBB29_11
.LBB29_17:                              ;   in Loop: Header=BB29_9 Depth=1
	s_or_b32 exec_lo, exec_lo, s25
.LBB29_18:                              ;   in Loop: Header=BB29_9 Depth=1
	s_delay_alu instid0(SALU_CYCLE_1) | instskip(NEXT) | instid1(SALU_CYCLE_1)
	s_or_b32 exec_lo, exec_lo, s23
	s_mov_b32 s1, exec_lo
	v_cmpx_gt_i64_e64 s[18:19], v[6:7]
	s_cbranch_execz .LBB29_8
; %bb.19:                               ;   in Loop: Header=BB29_9 Depth=1
	s_and_b32 vcc_lo, exec_lo, s20
	s_cbranch_vccz .LBB29_25
; %bb.20:                               ;   in Loop: Header=BB29_9 Depth=1
	s_and_b32 vcc_lo, exec_lo, s22
	s_mov_b32 s23, -1
	s_cbranch_vccz .LBB29_22
; %bb.21:                               ;   in Loop: Header=BB29_9 Depth=1
	v_lshlrev_b64 v[8:9], 2, v[6:7]
	v_mul_f32_e32 v11, s2, v23
	s_mov_b32 s23, 0
	s_delay_alu instid0(VALU_DEP_2) | instskip(NEXT) | instid1(VALU_DEP_3)
	v_add_co_u32 v8, vcc_lo, v21, v8
	v_add_co_ci_u32_e32 v9, vcc_lo, v22, v9, vcc_lo
	global_load_b32 v10, v[8:9], off
	s_waitcnt vmcnt(0)
	v_fmac_f32_e32 v11, s24, v10
	global_store_b32 v[8:9], v11, off
.LBB29_22:                              ;   in Loop: Header=BB29_9 Depth=1
	s_and_not1_b32 vcc_lo, exec_lo, s23
	s_cbranch_vccnz .LBB29_24
; %bb.23:                               ;   in Loop: Header=BB29_9 Depth=1
	v_mul_lo_u32 v10, v7, s14
	v_mul_lo_u32 v11, v6, s15
	v_mad_u64_u32 v[8:9], null, v6, s14, 0
	s_delay_alu instid0(VALU_DEP_1) | instskip(SKIP_1) | instid1(VALU_DEP_2)
	v_add3_u32 v9, v9, v11, v10
	v_mul_f32_e32 v11, s2, v23
	v_lshlrev_b64 v[8:9], 2, v[8:9]
	s_delay_alu instid0(VALU_DEP_1) | instskip(NEXT) | instid1(VALU_DEP_2)
	v_add_co_u32 v8, vcc_lo, v19, v8
	v_add_co_ci_u32_e32 v9, vcc_lo, v20, v9, vcc_lo
	global_load_b32 v10, v[8:9], off
	s_waitcnt vmcnt(0)
	v_fmac_f32_e32 v11, s24, v10
	global_store_b32 v[8:9], v11, off
.LBB29_24:                              ;   in Loop: Header=BB29_9 Depth=1
	s_cbranch_execnz .LBB29_8
	s_branch .LBB29_26
.LBB29_25:                              ;   in Loop: Header=BB29_9 Depth=1
.LBB29_26:                              ;   in Loop: Header=BB29_9 Depth=1
	v_mul_f32_e32 v8, s2, v23
	s_and_b32 vcc_lo, exec_lo, s22
	s_mov_b32 s23, -1
	s_cbranch_vccz .LBB29_28
; %bb.27:                               ;   in Loop: Header=BB29_9 Depth=1
	v_lshlrev_b64 v[9:10], 2, v[6:7]
	s_mov_b32 s23, 0
	s_delay_alu instid0(VALU_DEP_1) | instskip(NEXT) | instid1(VALU_DEP_2)
	v_add_co_u32 v9, vcc_lo, v21, v9
	v_add_co_ci_u32_e32 v10, vcc_lo, v22, v10, vcc_lo
	global_store_b32 v[9:10], v8, off
.LBB29_28:                              ;   in Loop: Header=BB29_9 Depth=1
	s_and_not1_b32 vcc_lo, exec_lo, s23
	s_cbranch_vccnz .LBB29_8
; %bb.29:                               ;   in Loop: Header=BB29_9 Depth=1
	v_mul_lo_u32 v7, v7, s14
	v_mul_lo_u32 v11, v6, s15
	v_mad_u64_u32 v[9:10], null, v6, s14, 0
	s_delay_alu instid0(VALU_DEP_1) | instskip(NEXT) | instid1(VALU_DEP_1)
	v_add3_u32 v10, v10, v11, v7
	v_lshlrev_b64 v[6:7], 2, v[9:10]
	s_delay_alu instid0(VALU_DEP_1) | instskip(NEXT) | instid1(VALU_DEP_2)
	v_add_co_u32 v6, vcc_lo, v19, v6
	v_add_co_ci_u32_e32 v7, vcc_lo, v20, v7, vcc_lo
	global_store_b32 v[6:7], v8, off
	s_branch .LBB29_8
.LBB29_30:
	s_nop 0
	s_sendmsg sendmsg(MSG_DEALLOC_VGPRS)
	s_endpgm
	.section	.rodata,"a",@progbits
	.p2align	6, 0x0
	.amdhsa_kernel _ZN9rocsparseL29bsrmmnt_small_blockdim_kernelILj64ELj8ELj2EllffffEEv20rocsparse_direction_T3_S2_llNS_24const_host_device_scalarIT7_EEPKT2_PKS2_PKT4_PKT5_llS5_PT6_ll16rocsparse_order_21rocsparse_index_base_b
		.amdhsa_group_segment_fixed_size 1280
		.amdhsa_private_segment_fixed_size 0
		.amdhsa_kernarg_size 400
		.amdhsa_user_sgpr_count 15
		.amdhsa_user_sgpr_dispatch_ptr 0
		.amdhsa_user_sgpr_queue_ptr 0
		.amdhsa_user_sgpr_kernarg_segment_ptr 1
		.amdhsa_user_sgpr_dispatch_id 0
		.amdhsa_user_sgpr_private_segment_size 0
		.amdhsa_wavefront_size32 1
		.amdhsa_uses_dynamic_stack 0
		.amdhsa_enable_private_segment 0
		.amdhsa_system_sgpr_workgroup_id_x 1
		.amdhsa_system_sgpr_workgroup_id_y 0
		.amdhsa_system_sgpr_workgroup_id_z 0
		.amdhsa_system_sgpr_workgroup_info 0
		.amdhsa_system_vgpr_workitem_id 0
		.amdhsa_next_free_vgpr 32
		.amdhsa_next_free_sgpr 28
		.amdhsa_reserve_vcc 1
		.amdhsa_float_round_mode_32 0
		.amdhsa_float_round_mode_16_64 0
		.amdhsa_float_denorm_mode_32 3
		.amdhsa_float_denorm_mode_16_64 3
		.amdhsa_dx10_clamp 1
		.amdhsa_ieee_mode 1
		.amdhsa_fp16_overflow 0
		.amdhsa_workgroup_processor_mode 1
		.amdhsa_memory_ordered 1
		.amdhsa_forward_progress 0
		.amdhsa_shared_vgpr_count 0
		.amdhsa_exception_fp_ieee_invalid_op 0
		.amdhsa_exception_fp_denorm_src 0
		.amdhsa_exception_fp_ieee_div_zero 0
		.amdhsa_exception_fp_ieee_overflow 0
		.amdhsa_exception_fp_ieee_underflow 0
		.amdhsa_exception_fp_ieee_inexact 0
		.amdhsa_exception_int_div_zero 0
	.end_amdhsa_kernel
	.section	.text._ZN9rocsparseL29bsrmmnt_small_blockdim_kernelILj64ELj8ELj2EllffffEEv20rocsparse_direction_T3_S2_llNS_24const_host_device_scalarIT7_EEPKT2_PKS2_PKT4_PKT5_llS5_PT6_ll16rocsparse_order_21rocsparse_index_base_b,"axG",@progbits,_ZN9rocsparseL29bsrmmnt_small_blockdim_kernelILj64ELj8ELj2EllffffEEv20rocsparse_direction_T3_S2_llNS_24const_host_device_scalarIT7_EEPKT2_PKS2_PKT4_PKT5_llS5_PT6_ll16rocsparse_order_21rocsparse_index_base_b,comdat
.Lfunc_end29:
	.size	_ZN9rocsparseL29bsrmmnt_small_blockdim_kernelILj64ELj8ELj2EllffffEEv20rocsparse_direction_T3_S2_llNS_24const_host_device_scalarIT7_EEPKT2_PKS2_PKT4_PKT5_llS5_PT6_ll16rocsparse_order_21rocsparse_index_base_b, .Lfunc_end29-_ZN9rocsparseL29bsrmmnt_small_blockdim_kernelILj64ELj8ELj2EllffffEEv20rocsparse_direction_T3_S2_llNS_24const_host_device_scalarIT7_EEPKT2_PKS2_PKT4_PKT5_llS5_PT6_ll16rocsparse_order_21rocsparse_index_base_b
                                        ; -- End function
	.section	.AMDGPU.csdata,"",@progbits
; Kernel info:
; codeLenInByte = 1616
; NumSgprs: 30
; NumVgprs: 32
; ScratchSize: 0
; MemoryBound: 0
; FloatMode: 240
; IeeeMode: 1
; LDSByteSize: 1280 bytes/workgroup (compile time only)
; SGPRBlocks: 3
; VGPRBlocks: 3
; NumSGPRsForWavesPerEU: 30
; NumVGPRsForWavesPerEU: 32
; Occupancy: 16
; WaveLimiterHint : 1
; COMPUTE_PGM_RSRC2:SCRATCH_EN: 0
; COMPUTE_PGM_RSRC2:USER_SGPR: 15
; COMPUTE_PGM_RSRC2:TRAP_HANDLER: 0
; COMPUTE_PGM_RSRC2:TGID_X_EN: 1
; COMPUTE_PGM_RSRC2:TGID_Y_EN: 0
; COMPUTE_PGM_RSRC2:TGID_Z_EN: 0
; COMPUTE_PGM_RSRC2:TIDIG_COMP_CNT: 0
	.section	.text._ZN9rocsparseL29bsrmmnt_small_blockdim_kernelILj64ELj16ELj2EllffffEEv20rocsparse_direction_T3_S2_llNS_24const_host_device_scalarIT7_EEPKT2_PKS2_PKT4_PKT5_llS5_PT6_ll16rocsparse_order_21rocsparse_index_base_b,"axG",@progbits,_ZN9rocsparseL29bsrmmnt_small_blockdim_kernelILj64ELj16ELj2EllffffEEv20rocsparse_direction_T3_S2_llNS_24const_host_device_scalarIT7_EEPKT2_PKS2_PKT4_PKT5_llS5_PT6_ll16rocsparse_order_21rocsparse_index_base_b,comdat
	.globl	_ZN9rocsparseL29bsrmmnt_small_blockdim_kernelILj64ELj16ELj2EllffffEEv20rocsparse_direction_T3_S2_llNS_24const_host_device_scalarIT7_EEPKT2_PKS2_PKT4_PKT5_llS5_PT6_ll16rocsparse_order_21rocsparse_index_base_b ; -- Begin function _ZN9rocsparseL29bsrmmnt_small_blockdim_kernelILj64ELj16ELj2EllffffEEv20rocsparse_direction_T3_S2_llNS_24const_host_device_scalarIT7_EEPKT2_PKS2_PKT4_PKT5_llS5_PT6_ll16rocsparse_order_21rocsparse_index_base_b
	.p2align	8
	.type	_ZN9rocsparseL29bsrmmnt_small_blockdim_kernelILj64ELj16ELj2EllffffEEv20rocsparse_direction_T3_S2_llNS_24const_host_device_scalarIT7_EEPKT2_PKS2_PKT4_PKT5_llS5_PT6_ll16rocsparse_order_21rocsparse_index_base_b,@function
_ZN9rocsparseL29bsrmmnt_small_blockdim_kernelILj64ELj16ELj2EllffffEEv20rocsparse_direction_T3_S2_llNS_24const_host_device_scalarIT7_EEPKT2_PKS2_PKT4_PKT5_llS5_PT6_ll16rocsparse_order_21rocsparse_index_base_b: ; @_ZN9rocsparseL29bsrmmnt_small_blockdim_kernelILj64ELj16ELj2EllffffEEv20rocsparse_direction_T3_S2_llNS_24const_host_device_scalarIT7_EEPKT2_PKS2_PKT4_PKT5_llS5_PT6_ll16rocsparse_order_21rocsparse_index_base_b
; %bb.0:
	s_clause 0x2
	s_load_b128 s[20:23], s[0:1], 0x80
	s_load_b64 s[2:3], s[0:1], 0x28
	s_load_b64 s[24:25], s[0:1], 0x60
	s_waitcnt lgkmcnt(0)
	s_bitcmp1_b32 s22, 0
	s_cselect_b32 s4, -1, 0
	s_delay_alu instid0(SALU_CYCLE_1)
	s_and_b32 vcc_lo, exec_lo, s4
	s_xor_b32 s4, s4, -1
	s_cbranch_vccnz .LBB30_2
; %bb.1:
	s_load_b32 s2, s[2:3], 0x0
.LBB30_2:
	s_and_not1_b32 vcc_lo, exec_lo, s4
	s_cbranch_vccnz .LBB30_4
; %bb.3:
	s_load_b32 s24, s[24:25], 0x0
.LBB30_4:
	s_waitcnt lgkmcnt(0)
	v_cmp_eq_f32_e64 s3, s2, 0
	v_cmp_eq_f32_e64 s4, s24, 1.0
	s_delay_alu instid0(VALU_DEP_1) | instskip(NEXT) | instid1(SALU_CYCLE_1)
	s_and_b32 s3, s3, s4
	s_and_b32 vcc_lo, exec_lo, s3
	s_cbranch_vccnz .LBB30_30
; %bb.5:
	s_clause 0x1
	s_load_b32 s3, s[0:1], 0x9c
	s_load_b128 s[16:19], s[0:1], 0x8
	v_mov_b32_e32 v3, 0
	s_waitcnt lgkmcnt(0)
	s_and_b32 s3, s3, 0xffff
	s_delay_alu instid0(SALU_CYCLE_1) | instskip(SKIP_1) | instid1(VALU_DEP_1)
	v_mad_u64_u32 v[1:2], null, s15, s3, v[0:1]
	s_mov_b32 s3, exec_lo
	v_lshrrev_b32_e32 v2, 5, v1
	s_delay_alu instid0(VALU_DEP_1)
	v_cmpx_gt_i64_e64 s[16:17], v[2:3]
	s_cbranch_execz .LBB30_30
; %bb.6:
	v_cmp_lt_i64_e64 s3, s[18:19], 1
	s_delay_alu instid0(VALU_DEP_1)
	s_and_b32 vcc_lo, exec_lo, s3
	s_cbranch_vccnz .LBB30_30
; %bb.7:
	s_load_b256 s[4:11], s[0:1], 0x30
	v_lshlrev_b32_e32 v2, 3, v2
	s_load_b128 s[12:15], s[0:1], 0x68
	v_lshrrev_b32_e32 v12, 4, v1
	v_bfe_u32 v8, v1, 4, 1
	v_dual_mov_b32 v9, 0 :: v_dual_and_b32 v14, 15, v0
	v_lshrrev_b32_e32 v0, 4, v0
	s_cmp_lg_u32 s20, 1
	v_cmp_neq_f32_e64 s20, s24, 0
	s_cselect_b32 s22, -1, 0
	s_mov_b32 s3, s21
	v_lshl_add_u32 v15, v0, 7, 0x300
	v_mul_u32_u24_e32 v16, 0xc0, v0
	s_delay_alu instid0(VALU_DEP_2)
	v_lshl_or_b32 v17, v14, 3, v15
	s_waitcnt lgkmcnt(0)
	global_load_b128 v[4:7], v2, s[4:5]
	s_load_b64 s[4:5], s[0:1], 0x50
	v_mad_u64_u32 v[2:3], null, v12, s14, 0
	s_load_b32 s0, s[0:1], 0x0
	s_delay_alu instid0(VALU_DEP_1) | instskip(NEXT) | instid1(VALU_DEP_1)
	v_mov_b32_e32 v1, v3
	v_mad_u64_u32 v[10:11], null, v12, s15, v[1:2]
	v_mul_u32_u24_e32 v1, 3, v14
	s_delay_alu instid0(VALU_DEP_1) | instskip(NEXT) | instid1(VALU_DEP_3)
	v_lshlrev_b32_e32 v1, 2, v1
	v_dual_mov_b32 v3, v10 :: v_dual_lshlrev_b32 v10, 2, v12
	s_waitcnt lgkmcnt(0)
	s_cmp_eq_u32 s0, 0
	s_delay_alu instid0(VALU_DEP_2) | instskip(NEXT) | instid1(VALU_DEP_2)
	v_mad_u32_u24 v18, 0xc0, v0, v1
	v_lshlrev_b64 v[0:1], 2, v[2:3]
	s_cselect_b32 s1, -1, 0
	v_add_co_u32 v19, s0, s12, v10
	v_cndmask_b32_e64 v10, 0, 1, s1
	v_add_co_ci_u32_e64 v20, null, s13, 0, s0
	s_delay_alu instid0(VALU_DEP_4)
	v_add_co_u32 v21, vcc_lo, s12, v0
	v_add_co_ci_u32_e32 v22, vcc_lo, s13, v1, vcc_lo
	s_and_b32 s1, s1, exec_lo
	s_mov_b64 s[12:13], 0
	s_waitcnt vmcnt(0)
	v_sub_co_u32 v0, vcc_lo, v4, s21
	v_subrev_co_ci_u32_e32 v1, vcc_lo, 0, v5, vcc_lo
	v_sub_co_u32 v2, vcc_lo, v6, s21
	v_cmp_lt_i64_e64 s0, v[4:5], v[6:7]
	v_lshlrev_b64 v[4:5], v10, v[8:9]
	v_subrev_co_ci_u32_e32 v3, vcc_lo, 0, v7, vcc_lo
	s_cselect_b32 s21, 1, 2
	s_lshl_b64 s[16:17], s[4:5], 2
	s_branch .LBB30_9
.LBB30_8:                               ;   in Loop: Header=BB30_9 Depth=1
	s_or_b32 exec_lo, exec_lo, s1
	s_add_u32 s12, s12, 16
	s_addc_u32 s13, s13, 0
	s_delay_alu instid0(SALU_CYCLE_1) | instskip(NEXT) | instid1(VALU_DEP_1)
	v_cmp_lt_i64_e64 s1, s[12:13], s[18:19]
	s_and_b32 vcc_lo, exec_lo, s1
	s_cbranch_vccz .LBB30_30
.LBB30_9:                               ; =>This Loop Header: Depth=1
                                        ;     Child Loop BB30_12 Depth 2
                                        ;       Child Loop BB30_16 Depth 3
	v_or_b32_e64 v7, s13, 0
	v_or_b32_e32 v6, s12, v14
	v_mov_b32_e32 v23, 0
	s_and_saveexec_b32 s23, s0
	s_cbranch_execz .LBB30_18
; %bb.10:                               ;   in Loop: Header=BB30_9 Depth=1
	s_delay_alu instid0(VALU_DEP_2) | instskip(SKIP_3) | instid1(VALU_DEP_3)
	v_lshlrev_b64 v[8:9], 2, v[6:7]
	v_cmp_gt_i64_e32 vcc_lo, s[18:19], v[6:7]
	v_mov_b32_e32 v23, 0
	s_mov_b32 s25, 0
	v_add_co_u32 v24, s1, s10, v8
	s_delay_alu instid0(VALU_DEP_1)
	v_add_co_ci_u32_e64 v25, s1, s11, v9, s1
	v_dual_mov_b32 v9, v1 :: v_dual_mov_b32 v8, v0
	s_branch .LBB30_12
.LBB30_11:                              ;   in Loop: Header=BB30_12 Depth=2
	s_or_b32 exec_lo, exec_lo, s26
	v_add_co_u32 v8, s1, v8, 16
	s_delay_alu instid0(VALU_DEP_1) | instskip(NEXT) | instid1(VALU_DEP_1)
	v_add_co_ci_u32_e64 v9, s1, 0, v9, s1
	v_cmp_ge_i64_e64 s1, v[8:9], v[2:3]
	s_delay_alu instid0(VALU_DEP_1) | instskip(NEXT) | instid1(SALU_CYCLE_1)
	s_or_b32 s25, s1, s25
	s_and_not1_b32 exec_lo, exec_lo, s25
	s_cbranch_execz .LBB30_17
.LBB30_12:                              ;   Parent Loop BB30_9 Depth=1
                                        ; =>  This Loop Header: Depth=2
                                        ;       Child Loop BB30_16 Depth 3
	s_delay_alu instid0(VALU_DEP_1) | instskip(SKIP_1) | instid1(VALU_DEP_3)
	v_add_co_u32 v10, s1, v8, v14
	v_dual_mov_b32 v12, 0 :: v_dual_mov_b32 v27, 0
	v_add_co_ci_u32_e64 v11, s1, 0, v9, s1
	v_dual_mov_b32 v13, 0 :: v_dual_mov_b32 v26, 0
	s_mov_b32 s26, exec_lo
	s_delay_alu instid0(VALU_DEP_2)
	v_cmpx_lt_i64_e64 v[10:11], v[2:3]
	s_cbranch_execz .LBB30_14
; %bb.13:                               ;   in Loop: Header=BB30_12 Depth=2
	v_lshlrev_b64 v[12:13], 2, v[10:11]
	v_lshlrev_b64 v[10:11], 3, v[10:11]
	s_delay_alu instid0(VALU_DEP_2) | instskip(NEXT) | instid1(VALU_DEP_3)
	v_or_b32_e32 v13, v13, v5
	v_or_b32_e32 v12, v12, v4
	s_delay_alu instid0(VALU_DEP_3) | instskip(NEXT) | instid1(VALU_DEP_1)
	v_add_co_u32 v10, s1, s6, v10
	v_add_co_ci_u32_e64 v11, s1, s7, v11, s1
	s_delay_alu instid0(VALU_DEP_4) | instskip(NEXT) | instid1(VALU_DEP_4)
	v_or_b32_e32 v27, 0, v13
	v_or_b32_e32 v26, s21, v12
	v_lshlrev_b64 v[12:13], 2, v[12:13]
	global_load_b64 v[10:11], v[10:11], off
	v_lshlrev_b64 v[26:27], 2, v[26:27]
	v_add_co_u32 v12, s1, s8, v12
	s_delay_alu instid0(VALU_DEP_1) | instskip(NEXT) | instid1(VALU_DEP_3)
	v_add_co_ci_u32_e64 v13, s1, s9, v13, s1
	v_add_co_u32 v28, s1, s8, v26
	s_delay_alu instid0(VALU_DEP_1)
	v_add_co_ci_u32_e64 v29, s1, s9, v27, s1
	s_clause 0x1
	global_load_b32 v26, v[12:13], off
	global_load_b32 v27, v[28:29], off
	s_waitcnt vmcnt(2)
	v_sub_co_u32 v10, s1, v10, s3
	s_delay_alu instid0(VALU_DEP_1) | instskip(NEXT) | instid1(VALU_DEP_1)
	v_subrev_co_ci_u32_e64 v11, s1, 0, v11, s1
	v_lshlrev_b64 v[12:13], 1, v[10:11]
.LBB30_14:                              ;   in Loop: Header=BB30_12 Depth=2
	s_or_b32 exec_lo, exec_lo, s26
	ds_store_b64 v17, v[12:13]
	s_waitcnt vmcnt(0)
	ds_store_2addr_b32 v18, v26, v27 offset1:1
	s_waitcnt lgkmcnt(0)
	s_waitcnt_vscnt null, 0x0
	s_barrier
	buffer_gl0_inv
	s_and_saveexec_b32 s26, vcc_lo
	s_cbranch_execz .LBB30_11
; %bb.15:                               ;   in Loop: Header=BB30_12 Depth=2
	v_mov_b32_e32 v10, v16
	s_mov_b32 s27, 0
.LBB30_16:                              ;   Parent Loop BB30_9 Depth=1
                                        ;     Parent Loop BB30_12 Depth=2
                                        ; =>    This Inner Loop Header: Depth=3
	s_delay_alu instid0(SALU_CYCLE_1) | instskip(SKIP_1) | instid1(SALU_CYCLE_1)
	v_add_nc_u32_e32 v11, s27, v15
	s_add_i32 s27, s27, 16
	s_cmpk_lg_i32 s27, 0x80
	ds_load_b128 v[26:29], v11
	s_waitcnt lgkmcnt(0)
	v_mul_lo_u32 v13, v27, s4
	v_mul_lo_u32 v30, v26, s5
	v_mad_u64_u32 v[11:12], null, v26, s4, 0
	v_mul_lo_u32 v29, v29, s4
	v_mul_lo_u32 v31, v28, s5
	v_mad_u64_u32 v[26:27], null, v28, s4, 0
	s_delay_alu instid0(VALU_DEP_4) | instskip(NEXT) | instid1(VALU_DEP_2)
	v_add3_u32 v12, v12, v30, v13
	v_add3_u32 v27, v27, v31, v29
	s_delay_alu instid0(VALU_DEP_2) | instskip(NEXT) | instid1(VALU_DEP_2)
	v_lshlrev_b64 v[11:12], 2, v[11:12]
	v_lshlrev_b64 v[26:27], 2, v[26:27]
	s_delay_alu instid0(VALU_DEP_2) | instskip(NEXT) | instid1(VALU_DEP_1)
	v_add_co_u32 v11, s1, v24, v11
	v_add_co_ci_u32_e64 v12, s1, v25, v12, s1
	global_load_b32 v13, v[11:12], off
	v_add_co_u32 v11, s1, v11, s16
	s_delay_alu instid0(VALU_DEP_1) | instskip(SKIP_1) | instid1(VALU_DEP_1)
	v_add_co_ci_u32_e64 v12, s1, s17, v12, s1
	v_add_co_u32 v26, s1, v24, v26
	v_add_co_ci_u32_e64 v27, s1, v25, v27, s1
	global_load_b32 v28, v[11:12], off
	v_add_co_u32 v11, s1, v26, s16
	s_delay_alu instid0(VALU_DEP_1)
	v_add_co_ci_u32_e64 v12, s1, s17, v27, s1
	s_clause 0x1
	global_load_b32 v29, v[26:27], off
	global_load_b32 v30, v[11:12], off
	ds_load_b64 v[11:12], v10
	ds_load_2addr_b32 v[26:27], v10 offset0:3 offset1:4
	s_waitcnt vmcnt(3) lgkmcnt(1)
	v_dual_fmac_f32 v23, v11, v13 :: v_dual_add_nc_u32 v10, 24, v10
	s_waitcnt vmcnt(2)
	s_delay_alu instid0(VALU_DEP_1) | instskip(SKIP_1) | instid1(VALU_DEP_1)
	v_fmac_f32_e32 v23, v12, v28
	s_waitcnt vmcnt(1) lgkmcnt(0)
	v_fmac_f32_e32 v23, v26, v29
	s_waitcnt vmcnt(0)
	s_delay_alu instid0(VALU_DEP_1)
	v_fmac_f32_e32 v23, v27, v30
	s_cbranch_scc1 .LBB30_16
	s_branch .LBB30_11
.LBB30_17:                              ;   in Loop: Header=BB30_9 Depth=1
	s_or_b32 exec_lo, exec_lo, s25
.LBB30_18:                              ;   in Loop: Header=BB30_9 Depth=1
	s_delay_alu instid0(SALU_CYCLE_1) | instskip(NEXT) | instid1(SALU_CYCLE_1)
	s_or_b32 exec_lo, exec_lo, s23
	s_mov_b32 s1, exec_lo
	v_cmpx_gt_i64_e64 s[18:19], v[6:7]
	s_cbranch_execz .LBB30_8
; %bb.19:                               ;   in Loop: Header=BB30_9 Depth=1
	s_and_b32 vcc_lo, exec_lo, s20
	s_cbranch_vccz .LBB30_25
; %bb.20:                               ;   in Loop: Header=BB30_9 Depth=1
	s_and_b32 vcc_lo, exec_lo, s22
	s_mov_b32 s23, -1
	s_cbranch_vccz .LBB30_22
; %bb.21:                               ;   in Loop: Header=BB30_9 Depth=1
	v_lshlrev_b64 v[8:9], 2, v[6:7]
	v_mul_f32_e32 v11, s2, v23
	s_mov_b32 s23, 0
	s_delay_alu instid0(VALU_DEP_2) | instskip(NEXT) | instid1(VALU_DEP_3)
	v_add_co_u32 v8, vcc_lo, v21, v8
	v_add_co_ci_u32_e32 v9, vcc_lo, v22, v9, vcc_lo
	global_load_b32 v10, v[8:9], off
	s_waitcnt vmcnt(0)
	v_fmac_f32_e32 v11, s24, v10
	global_store_b32 v[8:9], v11, off
.LBB30_22:                              ;   in Loop: Header=BB30_9 Depth=1
	s_and_not1_b32 vcc_lo, exec_lo, s23
	s_cbranch_vccnz .LBB30_24
; %bb.23:                               ;   in Loop: Header=BB30_9 Depth=1
	v_mul_lo_u32 v10, v7, s14
	v_mul_lo_u32 v11, v6, s15
	v_mad_u64_u32 v[8:9], null, v6, s14, 0
	s_delay_alu instid0(VALU_DEP_1) | instskip(SKIP_1) | instid1(VALU_DEP_2)
	v_add3_u32 v9, v9, v11, v10
	v_mul_f32_e32 v11, s2, v23
	v_lshlrev_b64 v[8:9], 2, v[8:9]
	s_delay_alu instid0(VALU_DEP_1) | instskip(NEXT) | instid1(VALU_DEP_2)
	v_add_co_u32 v8, vcc_lo, v19, v8
	v_add_co_ci_u32_e32 v9, vcc_lo, v20, v9, vcc_lo
	global_load_b32 v10, v[8:9], off
	s_waitcnt vmcnt(0)
	v_fmac_f32_e32 v11, s24, v10
	global_store_b32 v[8:9], v11, off
.LBB30_24:                              ;   in Loop: Header=BB30_9 Depth=1
	s_cbranch_execnz .LBB30_8
	s_branch .LBB30_26
.LBB30_25:                              ;   in Loop: Header=BB30_9 Depth=1
.LBB30_26:                              ;   in Loop: Header=BB30_9 Depth=1
	v_mul_f32_e32 v8, s2, v23
	s_and_b32 vcc_lo, exec_lo, s22
	s_mov_b32 s23, -1
	s_cbranch_vccz .LBB30_28
; %bb.27:                               ;   in Loop: Header=BB30_9 Depth=1
	v_lshlrev_b64 v[9:10], 2, v[6:7]
	s_mov_b32 s23, 0
	s_delay_alu instid0(VALU_DEP_1) | instskip(NEXT) | instid1(VALU_DEP_2)
	v_add_co_u32 v9, vcc_lo, v21, v9
	v_add_co_ci_u32_e32 v10, vcc_lo, v22, v10, vcc_lo
	global_store_b32 v[9:10], v8, off
.LBB30_28:                              ;   in Loop: Header=BB30_9 Depth=1
	s_and_not1_b32 vcc_lo, exec_lo, s23
	s_cbranch_vccnz .LBB30_8
; %bb.29:                               ;   in Loop: Header=BB30_9 Depth=1
	v_mul_lo_u32 v7, v7, s14
	v_mul_lo_u32 v11, v6, s15
	v_mad_u64_u32 v[9:10], null, v6, s14, 0
	s_delay_alu instid0(VALU_DEP_1) | instskip(NEXT) | instid1(VALU_DEP_1)
	v_add3_u32 v10, v10, v11, v7
	v_lshlrev_b64 v[6:7], 2, v[9:10]
	s_delay_alu instid0(VALU_DEP_1) | instskip(NEXT) | instid1(VALU_DEP_2)
	v_add_co_u32 v6, vcc_lo, v19, v6
	v_add_co_ci_u32_e32 v7, vcc_lo, v20, v7, vcc_lo
	global_store_b32 v[6:7], v8, off
	s_branch .LBB30_8
.LBB30_30:
	s_nop 0
	s_sendmsg sendmsg(MSG_DEALLOC_VGPRS)
	s_endpgm
	.section	.rodata,"a",@progbits
	.p2align	6, 0x0
	.amdhsa_kernel _ZN9rocsparseL29bsrmmnt_small_blockdim_kernelILj64ELj16ELj2EllffffEEv20rocsparse_direction_T3_S2_llNS_24const_host_device_scalarIT7_EEPKT2_PKS2_PKT4_PKT5_llS5_PT6_ll16rocsparse_order_21rocsparse_index_base_b
		.amdhsa_group_segment_fixed_size 1280
		.amdhsa_private_segment_fixed_size 0
		.amdhsa_kernarg_size 400
		.amdhsa_user_sgpr_count 15
		.amdhsa_user_sgpr_dispatch_ptr 0
		.amdhsa_user_sgpr_queue_ptr 0
		.amdhsa_user_sgpr_kernarg_segment_ptr 1
		.amdhsa_user_sgpr_dispatch_id 0
		.amdhsa_user_sgpr_private_segment_size 0
		.amdhsa_wavefront_size32 1
		.amdhsa_uses_dynamic_stack 0
		.amdhsa_enable_private_segment 0
		.amdhsa_system_sgpr_workgroup_id_x 1
		.amdhsa_system_sgpr_workgroup_id_y 0
		.amdhsa_system_sgpr_workgroup_id_z 0
		.amdhsa_system_sgpr_workgroup_info 0
		.amdhsa_system_vgpr_workitem_id 0
		.amdhsa_next_free_vgpr 32
		.amdhsa_next_free_sgpr 28
		.amdhsa_reserve_vcc 1
		.amdhsa_float_round_mode_32 0
		.amdhsa_float_round_mode_16_64 0
		.amdhsa_float_denorm_mode_32 3
		.amdhsa_float_denorm_mode_16_64 3
		.amdhsa_dx10_clamp 1
		.amdhsa_ieee_mode 1
		.amdhsa_fp16_overflow 0
		.amdhsa_workgroup_processor_mode 1
		.amdhsa_memory_ordered 1
		.amdhsa_forward_progress 0
		.amdhsa_shared_vgpr_count 0
		.amdhsa_exception_fp_ieee_invalid_op 0
		.amdhsa_exception_fp_denorm_src 0
		.amdhsa_exception_fp_ieee_div_zero 0
		.amdhsa_exception_fp_ieee_overflow 0
		.amdhsa_exception_fp_ieee_underflow 0
		.amdhsa_exception_fp_ieee_inexact 0
		.amdhsa_exception_int_div_zero 0
	.end_amdhsa_kernel
	.section	.text._ZN9rocsparseL29bsrmmnt_small_blockdim_kernelILj64ELj16ELj2EllffffEEv20rocsparse_direction_T3_S2_llNS_24const_host_device_scalarIT7_EEPKT2_PKS2_PKT4_PKT5_llS5_PT6_ll16rocsparse_order_21rocsparse_index_base_b,"axG",@progbits,_ZN9rocsparseL29bsrmmnt_small_blockdim_kernelILj64ELj16ELj2EllffffEEv20rocsparse_direction_T3_S2_llNS_24const_host_device_scalarIT7_EEPKT2_PKS2_PKT4_PKT5_llS5_PT6_ll16rocsparse_order_21rocsparse_index_base_b,comdat
.Lfunc_end30:
	.size	_ZN9rocsparseL29bsrmmnt_small_blockdim_kernelILj64ELj16ELj2EllffffEEv20rocsparse_direction_T3_S2_llNS_24const_host_device_scalarIT7_EEPKT2_PKS2_PKT4_PKT5_llS5_PT6_ll16rocsparse_order_21rocsparse_index_base_b, .Lfunc_end30-_ZN9rocsparseL29bsrmmnt_small_blockdim_kernelILj64ELj16ELj2EllffffEEv20rocsparse_direction_T3_S2_llNS_24const_host_device_scalarIT7_EEPKT2_PKS2_PKT4_PKT5_llS5_PT6_ll16rocsparse_order_21rocsparse_index_base_b
                                        ; -- End function
	.section	.AMDGPU.csdata,"",@progbits
; Kernel info:
; codeLenInByte = 1616
; NumSgprs: 30
; NumVgprs: 32
; ScratchSize: 0
; MemoryBound: 0
; FloatMode: 240
; IeeeMode: 1
; LDSByteSize: 1280 bytes/workgroup (compile time only)
; SGPRBlocks: 3
; VGPRBlocks: 3
; NumSGPRsForWavesPerEU: 30
; NumVGPRsForWavesPerEU: 32
; Occupancy: 16
; WaveLimiterHint : 1
; COMPUTE_PGM_RSRC2:SCRATCH_EN: 0
; COMPUTE_PGM_RSRC2:USER_SGPR: 15
; COMPUTE_PGM_RSRC2:TRAP_HANDLER: 0
; COMPUTE_PGM_RSRC2:TGID_X_EN: 1
; COMPUTE_PGM_RSRC2:TGID_Y_EN: 0
; COMPUTE_PGM_RSRC2:TGID_Z_EN: 0
; COMPUTE_PGM_RSRC2:TIDIG_COMP_CNT: 0
	.section	.text._ZN9rocsparseL29bsrmmnt_small_blockdim_kernelILj64ELj32ELj2EllffffEEv20rocsparse_direction_T3_S2_llNS_24const_host_device_scalarIT7_EEPKT2_PKS2_PKT4_PKT5_llS5_PT6_ll16rocsparse_order_21rocsparse_index_base_b,"axG",@progbits,_ZN9rocsparseL29bsrmmnt_small_blockdim_kernelILj64ELj32ELj2EllffffEEv20rocsparse_direction_T3_S2_llNS_24const_host_device_scalarIT7_EEPKT2_PKS2_PKT4_PKT5_llS5_PT6_ll16rocsparse_order_21rocsparse_index_base_b,comdat
	.globl	_ZN9rocsparseL29bsrmmnt_small_blockdim_kernelILj64ELj32ELj2EllffffEEv20rocsparse_direction_T3_S2_llNS_24const_host_device_scalarIT7_EEPKT2_PKS2_PKT4_PKT5_llS5_PT6_ll16rocsparse_order_21rocsparse_index_base_b ; -- Begin function _ZN9rocsparseL29bsrmmnt_small_blockdim_kernelILj64ELj32ELj2EllffffEEv20rocsparse_direction_T3_S2_llNS_24const_host_device_scalarIT7_EEPKT2_PKS2_PKT4_PKT5_llS5_PT6_ll16rocsparse_order_21rocsparse_index_base_b
	.p2align	8
	.type	_ZN9rocsparseL29bsrmmnt_small_blockdim_kernelILj64ELj32ELj2EllffffEEv20rocsparse_direction_T3_S2_llNS_24const_host_device_scalarIT7_EEPKT2_PKS2_PKT4_PKT5_llS5_PT6_ll16rocsparse_order_21rocsparse_index_base_b,@function
_ZN9rocsparseL29bsrmmnt_small_blockdim_kernelILj64ELj32ELj2EllffffEEv20rocsparse_direction_T3_S2_llNS_24const_host_device_scalarIT7_EEPKT2_PKS2_PKT4_PKT5_llS5_PT6_ll16rocsparse_order_21rocsparse_index_base_b: ; @_ZN9rocsparseL29bsrmmnt_small_blockdim_kernelILj64ELj32ELj2EllffffEEv20rocsparse_direction_T3_S2_llNS_24const_host_device_scalarIT7_EEPKT2_PKS2_PKT4_PKT5_llS5_PT6_ll16rocsparse_order_21rocsparse_index_base_b
; %bb.0:
	s_clause 0x2
	s_load_b128 s[20:23], s[0:1], 0x80
	s_load_b64 s[2:3], s[0:1], 0x28
	s_load_b64 s[24:25], s[0:1], 0x60
	s_waitcnt lgkmcnt(0)
	s_bitcmp1_b32 s22, 0
	s_cselect_b32 s4, -1, 0
	s_delay_alu instid0(SALU_CYCLE_1)
	s_and_b32 vcc_lo, exec_lo, s4
	s_xor_b32 s4, s4, -1
	s_cbranch_vccnz .LBB31_2
; %bb.1:
	s_load_b32 s2, s[2:3], 0x0
.LBB31_2:
	s_and_not1_b32 vcc_lo, exec_lo, s4
	s_cbranch_vccnz .LBB31_4
; %bb.3:
	s_load_b32 s24, s[24:25], 0x0
.LBB31_4:
	s_waitcnt lgkmcnt(0)
	v_cmp_eq_f32_e64 s3, s2, 0
	v_cmp_eq_f32_e64 s4, s24, 1.0
	s_delay_alu instid0(VALU_DEP_1) | instskip(NEXT) | instid1(SALU_CYCLE_1)
	s_and_b32 s3, s3, s4
	s_and_b32 vcc_lo, exec_lo, s3
	s_cbranch_vccnz .LBB31_30
; %bb.5:
	s_clause 0x1
	s_load_b32 s3, s[0:1], 0x9c
	s_load_b128 s[16:19], s[0:1], 0x8
	v_mov_b32_e32 v3, 0
	s_waitcnt lgkmcnt(0)
	s_and_b32 s3, s3, 0xffff
	s_delay_alu instid0(SALU_CYCLE_1) | instskip(SKIP_1) | instid1(VALU_DEP_1)
	v_mad_u64_u32 v[1:2], null, s15, s3, v[0:1]
	s_mov_b32 s3, exec_lo
	v_lshrrev_b32_e32 v2, 6, v1
	s_delay_alu instid0(VALU_DEP_1)
	v_cmpx_gt_i64_e64 s[16:17], v[2:3]
	s_cbranch_execz .LBB31_30
; %bb.6:
	v_cmp_lt_i64_e64 s3, s[18:19], 1
	s_delay_alu instid0(VALU_DEP_1)
	s_and_b32 vcc_lo, exec_lo, s3
	s_cbranch_vccnz .LBB31_30
; %bb.7:
	s_load_b256 s[4:11], s[0:1], 0x30
	v_lshlrev_b32_e32 v2, 3, v2
	s_load_b128 s[12:15], s[0:1], 0x68
	v_lshrrev_b32_e32 v12, 5, v1
	v_bfe_u32 v8, v1, 5, 1
	v_dual_mov_b32 v9, 0 :: v_dual_and_b32 v14, 31, v0
	v_lshrrev_b32_e32 v0, 5, v0
	s_cmp_lg_u32 s20, 1
	v_cmp_neq_f32_e64 s20, s24, 0
	s_cselect_b32 s22, -1, 0
	s_mov_b32 s3, s21
	v_lshl_add_u32 v15, v0, 8, 0x300
	v_mul_u32_u24_e32 v16, 0x180, v0
	s_delay_alu instid0(VALU_DEP_2)
	v_lshl_or_b32 v17, v14, 3, v15
	s_waitcnt lgkmcnt(0)
	global_load_b128 v[4:7], v2, s[4:5]
	s_load_b64 s[4:5], s[0:1], 0x50
	v_mad_u64_u32 v[2:3], null, v12, s14, 0
	s_load_b32 s0, s[0:1], 0x0
	s_delay_alu instid0(VALU_DEP_1) | instskip(NEXT) | instid1(VALU_DEP_1)
	v_mov_b32_e32 v1, v3
	v_mad_u64_u32 v[10:11], null, v12, s15, v[1:2]
	v_mul_u32_u24_e32 v1, 3, v14
	s_delay_alu instid0(VALU_DEP_1) | instskip(NEXT) | instid1(VALU_DEP_3)
	v_lshlrev_b32_e32 v1, 2, v1
	v_dual_mov_b32 v3, v10 :: v_dual_lshlrev_b32 v10, 2, v12
	s_waitcnt lgkmcnt(0)
	s_cmp_eq_u32 s0, 0
	s_delay_alu instid0(VALU_DEP_2) | instskip(NEXT) | instid1(VALU_DEP_2)
	v_mad_u32_u24 v18, 0x180, v0, v1
	v_lshlrev_b64 v[0:1], 2, v[2:3]
	s_cselect_b32 s1, -1, 0
	v_add_co_u32 v19, s0, s12, v10
	v_cndmask_b32_e64 v10, 0, 1, s1
	v_add_co_ci_u32_e64 v20, null, s13, 0, s0
	s_delay_alu instid0(VALU_DEP_4)
	v_add_co_u32 v21, vcc_lo, s12, v0
	v_add_co_ci_u32_e32 v22, vcc_lo, s13, v1, vcc_lo
	s_and_b32 s1, s1, exec_lo
	s_mov_b64 s[12:13], 0
	s_waitcnt vmcnt(0)
	v_sub_co_u32 v0, vcc_lo, v4, s21
	v_subrev_co_ci_u32_e32 v1, vcc_lo, 0, v5, vcc_lo
	v_sub_co_u32 v2, vcc_lo, v6, s21
	v_cmp_lt_i64_e64 s0, v[4:5], v[6:7]
	v_lshlrev_b64 v[4:5], v10, v[8:9]
	v_subrev_co_ci_u32_e32 v3, vcc_lo, 0, v7, vcc_lo
	s_cselect_b32 s21, 1, 2
	s_lshl_b64 s[16:17], s[4:5], 2
	s_branch .LBB31_9
.LBB31_8:                               ;   in Loop: Header=BB31_9 Depth=1
	s_or_b32 exec_lo, exec_lo, s1
	s_add_u32 s12, s12, 32
	s_addc_u32 s13, s13, 0
	s_delay_alu instid0(SALU_CYCLE_1) | instskip(NEXT) | instid1(VALU_DEP_1)
	v_cmp_lt_i64_e64 s1, s[12:13], s[18:19]
	s_and_b32 vcc_lo, exec_lo, s1
	s_cbranch_vccz .LBB31_30
.LBB31_9:                               ; =>This Loop Header: Depth=1
                                        ;     Child Loop BB31_12 Depth 2
                                        ;       Child Loop BB31_16 Depth 3
	v_or_b32_e64 v7, s13, 0
	v_or_b32_e32 v6, s12, v14
	v_mov_b32_e32 v23, 0
	s_and_saveexec_b32 s23, s0
	s_cbranch_execz .LBB31_18
; %bb.10:                               ;   in Loop: Header=BB31_9 Depth=1
	s_delay_alu instid0(VALU_DEP_2) | instskip(SKIP_3) | instid1(VALU_DEP_3)
	v_lshlrev_b64 v[8:9], 2, v[6:7]
	v_cmp_gt_i64_e32 vcc_lo, s[18:19], v[6:7]
	v_mov_b32_e32 v23, 0
	s_mov_b32 s25, 0
	v_add_co_u32 v24, s1, s10, v8
	s_delay_alu instid0(VALU_DEP_1)
	v_add_co_ci_u32_e64 v25, s1, s11, v9, s1
	v_dual_mov_b32 v9, v1 :: v_dual_mov_b32 v8, v0
	s_branch .LBB31_12
.LBB31_11:                              ;   in Loop: Header=BB31_12 Depth=2
	s_or_b32 exec_lo, exec_lo, s26
	v_add_co_u32 v8, s1, v8, 32
	s_delay_alu instid0(VALU_DEP_1) | instskip(NEXT) | instid1(VALU_DEP_1)
	v_add_co_ci_u32_e64 v9, s1, 0, v9, s1
	v_cmp_ge_i64_e64 s1, v[8:9], v[2:3]
	s_delay_alu instid0(VALU_DEP_1) | instskip(NEXT) | instid1(SALU_CYCLE_1)
	s_or_b32 s25, s1, s25
	s_and_not1_b32 exec_lo, exec_lo, s25
	s_cbranch_execz .LBB31_17
.LBB31_12:                              ;   Parent Loop BB31_9 Depth=1
                                        ; =>  This Loop Header: Depth=2
                                        ;       Child Loop BB31_16 Depth 3
	s_delay_alu instid0(VALU_DEP_1) | instskip(SKIP_1) | instid1(VALU_DEP_3)
	v_add_co_u32 v10, s1, v8, v14
	v_dual_mov_b32 v12, 0 :: v_dual_mov_b32 v27, 0
	v_add_co_ci_u32_e64 v11, s1, 0, v9, s1
	v_dual_mov_b32 v13, 0 :: v_dual_mov_b32 v26, 0
	s_mov_b32 s26, exec_lo
	s_delay_alu instid0(VALU_DEP_2)
	v_cmpx_lt_i64_e64 v[10:11], v[2:3]
	s_cbranch_execz .LBB31_14
; %bb.13:                               ;   in Loop: Header=BB31_12 Depth=2
	v_lshlrev_b64 v[12:13], 2, v[10:11]
	v_lshlrev_b64 v[10:11], 3, v[10:11]
	s_delay_alu instid0(VALU_DEP_2) | instskip(NEXT) | instid1(VALU_DEP_3)
	v_or_b32_e32 v13, v13, v5
	v_or_b32_e32 v12, v12, v4
	s_delay_alu instid0(VALU_DEP_3) | instskip(NEXT) | instid1(VALU_DEP_1)
	v_add_co_u32 v10, s1, s6, v10
	v_add_co_ci_u32_e64 v11, s1, s7, v11, s1
	s_delay_alu instid0(VALU_DEP_4) | instskip(NEXT) | instid1(VALU_DEP_4)
	v_or_b32_e32 v27, 0, v13
	v_or_b32_e32 v26, s21, v12
	v_lshlrev_b64 v[12:13], 2, v[12:13]
	global_load_b64 v[10:11], v[10:11], off
	v_lshlrev_b64 v[26:27], 2, v[26:27]
	v_add_co_u32 v12, s1, s8, v12
	s_delay_alu instid0(VALU_DEP_1) | instskip(NEXT) | instid1(VALU_DEP_3)
	v_add_co_ci_u32_e64 v13, s1, s9, v13, s1
	v_add_co_u32 v28, s1, s8, v26
	s_delay_alu instid0(VALU_DEP_1)
	v_add_co_ci_u32_e64 v29, s1, s9, v27, s1
	s_clause 0x1
	global_load_b32 v26, v[12:13], off
	global_load_b32 v27, v[28:29], off
	s_waitcnt vmcnt(2)
	v_sub_co_u32 v10, s1, v10, s3
	s_delay_alu instid0(VALU_DEP_1) | instskip(NEXT) | instid1(VALU_DEP_1)
	v_subrev_co_ci_u32_e64 v11, s1, 0, v11, s1
	v_lshlrev_b64 v[12:13], 1, v[10:11]
.LBB31_14:                              ;   in Loop: Header=BB31_12 Depth=2
	s_or_b32 exec_lo, exec_lo, s26
	ds_store_b64 v17, v[12:13]
	s_waitcnt vmcnt(0)
	ds_store_2addr_b32 v18, v26, v27 offset1:1
	s_waitcnt lgkmcnt(0)
	s_waitcnt_vscnt null, 0x0
	s_barrier
	buffer_gl0_inv
	s_and_saveexec_b32 s26, vcc_lo
	s_cbranch_execz .LBB31_11
; %bb.15:                               ;   in Loop: Header=BB31_12 Depth=2
	v_mov_b32_e32 v10, v16
	s_mov_b32 s27, 0
.LBB31_16:                              ;   Parent Loop BB31_9 Depth=1
                                        ;     Parent Loop BB31_12 Depth=2
                                        ; =>    This Inner Loop Header: Depth=3
	s_delay_alu instid0(SALU_CYCLE_1) | instskip(SKIP_1) | instid1(SALU_CYCLE_1)
	v_add_nc_u32_e32 v11, s27, v15
	s_add_i32 s27, s27, 16
	s_cmpk_lg_i32 s27, 0x100
	ds_load_b128 v[26:29], v11
	s_waitcnt lgkmcnt(0)
	v_mul_lo_u32 v13, v27, s4
	v_mul_lo_u32 v30, v26, s5
	v_mad_u64_u32 v[11:12], null, v26, s4, 0
	v_mul_lo_u32 v29, v29, s4
	v_mul_lo_u32 v31, v28, s5
	v_mad_u64_u32 v[26:27], null, v28, s4, 0
	s_delay_alu instid0(VALU_DEP_4) | instskip(NEXT) | instid1(VALU_DEP_2)
	v_add3_u32 v12, v12, v30, v13
	v_add3_u32 v27, v27, v31, v29
	s_delay_alu instid0(VALU_DEP_2) | instskip(NEXT) | instid1(VALU_DEP_2)
	v_lshlrev_b64 v[11:12], 2, v[11:12]
	v_lshlrev_b64 v[26:27], 2, v[26:27]
	s_delay_alu instid0(VALU_DEP_2) | instskip(NEXT) | instid1(VALU_DEP_1)
	v_add_co_u32 v11, s1, v24, v11
	v_add_co_ci_u32_e64 v12, s1, v25, v12, s1
	global_load_b32 v13, v[11:12], off
	v_add_co_u32 v11, s1, v11, s16
	s_delay_alu instid0(VALU_DEP_1) | instskip(SKIP_1) | instid1(VALU_DEP_1)
	v_add_co_ci_u32_e64 v12, s1, s17, v12, s1
	v_add_co_u32 v26, s1, v24, v26
	v_add_co_ci_u32_e64 v27, s1, v25, v27, s1
	global_load_b32 v28, v[11:12], off
	v_add_co_u32 v11, s1, v26, s16
	s_delay_alu instid0(VALU_DEP_1)
	v_add_co_ci_u32_e64 v12, s1, s17, v27, s1
	s_clause 0x1
	global_load_b32 v29, v[26:27], off
	global_load_b32 v30, v[11:12], off
	ds_load_b64 v[11:12], v10
	ds_load_2addr_b32 v[26:27], v10 offset0:3 offset1:4
	s_waitcnt vmcnt(3) lgkmcnt(1)
	v_dual_fmac_f32 v23, v11, v13 :: v_dual_add_nc_u32 v10, 24, v10
	s_waitcnt vmcnt(2)
	s_delay_alu instid0(VALU_DEP_1) | instskip(SKIP_1) | instid1(VALU_DEP_1)
	v_fmac_f32_e32 v23, v12, v28
	s_waitcnt vmcnt(1) lgkmcnt(0)
	v_fmac_f32_e32 v23, v26, v29
	s_waitcnt vmcnt(0)
	s_delay_alu instid0(VALU_DEP_1)
	v_fmac_f32_e32 v23, v27, v30
	s_cbranch_scc1 .LBB31_16
	s_branch .LBB31_11
.LBB31_17:                              ;   in Loop: Header=BB31_9 Depth=1
	s_or_b32 exec_lo, exec_lo, s25
.LBB31_18:                              ;   in Loop: Header=BB31_9 Depth=1
	s_delay_alu instid0(SALU_CYCLE_1) | instskip(NEXT) | instid1(SALU_CYCLE_1)
	s_or_b32 exec_lo, exec_lo, s23
	s_mov_b32 s1, exec_lo
	v_cmpx_gt_i64_e64 s[18:19], v[6:7]
	s_cbranch_execz .LBB31_8
; %bb.19:                               ;   in Loop: Header=BB31_9 Depth=1
	s_and_b32 vcc_lo, exec_lo, s20
	s_cbranch_vccz .LBB31_25
; %bb.20:                               ;   in Loop: Header=BB31_9 Depth=1
	s_and_b32 vcc_lo, exec_lo, s22
	s_mov_b32 s23, -1
	s_cbranch_vccz .LBB31_22
; %bb.21:                               ;   in Loop: Header=BB31_9 Depth=1
	v_lshlrev_b64 v[8:9], 2, v[6:7]
	v_mul_f32_e32 v11, s2, v23
	s_mov_b32 s23, 0
	s_delay_alu instid0(VALU_DEP_2) | instskip(NEXT) | instid1(VALU_DEP_3)
	v_add_co_u32 v8, vcc_lo, v21, v8
	v_add_co_ci_u32_e32 v9, vcc_lo, v22, v9, vcc_lo
	global_load_b32 v10, v[8:9], off
	s_waitcnt vmcnt(0)
	v_fmac_f32_e32 v11, s24, v10
	global_store_b32 v[8:9], v11, off
.LBB31_22:                              ;   in Loop: Header=BB31_9 Depth=1
	s_and_not1_b32 vcc_lo, exec_lo, s23
	s_cbranch_vccnz .LBB31_24
; %bb.23:                               ;   in Loop: Header=BB31_9 Depth=1
	v_mul_lo_u32 v10, v7, s14
	v_mul_lo_u32 v11, v6, s15
	v_mad_u64_u32 v[8:9], null, v6, s14, 0
	s_delay_alu instid0(VALU_DEP_1) | instskip(SKIP_1) | instid1(VALU_DEP_2)
	v_add3_u32 v9, v9, v11, v10
	v_mul_f32_e32 v11, s2, v23
	v_lshlrev_b64 v[8:9], 2, v[8:9]
	s_delay_alu instid0(VALU_DEP_1) | instskip(NEXT) | instid1(VALU_DEP_2)
	v_add_co_u32 v8, vcc_lo, v19, v8
	v_add_co_ci_u32_e32 v9, vcc_lo, v20, v9, vcc_lo
	global_load_b32 v10, v[8:9], off
	s_waitcnt vmcnt(0)
	v_fmac_f32_e32 v11, s24, v10
	global_store_b32 v[8:9], v11, off
.LBB31_24:                              ;   in Loop: Header=BB31_9 Depth=1
	s_cbranch_execnz .LBB31_8
	s_branch .LBB31_26
.LBB31_25:                              ;   in Loop: Header=BB31_9 Depth=1
.LBB31_26:                              ;   in Loop: Header=BB31_9 Depth=1
	v_mul_f32_e32 v8, s2, v23
	s_and_b32 vcc_lo, exec_lo, s22
	s_mov_b32 s23, -1
	s_cbranch_vccz .LBB31_28
; %bb.27:                               ;   in Loop: Header=BB31_9 Depth=1
	v_lshlrev_b64 v[9:10], 2, v[6:7]
	s_mov_b32 s23, 0
	s_delay_alu instid0(VALU_DEP_1) | instskip(NEXT) | instid1(VALU_DEP_2)
	v_add_co_u32 v9, vcc_lo, v21, v9
	v_add_co_ci_u32_e32 v10, vcc_lo, v22, v10, vcc_lo
	global_store_b32 v[9:10], v8, off
.LBB31_28:                              ;   in Loop: Header=BB31_9 Depth=1
	s_and_not1_b32 vcc_lo, exec_lo, s23
	s_cbranch_vccnz .LBB31_8
; %bb.29:                               ;   in Loop: Header=BB31_9 Depth=1
	v_mul_lo_u32 v7, v7, s14
	v_mul_lo_u32 v11, v6, s15
	v_mad_u64_u32 v[9:10], null, v6, s14, 0
	s_delay_alu instid0(VALU_DEP_1) | instskip(NEXT) | instid1(VALU_DEP_1)
	v_add3_u32 v10, v10, v11, v7
	v_lshlrev_b64 v[6:7], 2, v[9:10]
	s_delay_alu instid0(VALU_DEP_1) | instskip(NEXT) | instid1(VALU_DEP_2)
	v_add_co_u32 v6, vcc_lo, v19, v6
	v_add_co_ci_u32_e32 v7, vcc_lo, v20, v7, vcc_lo
	global_store_b32 v[6:7], v8, off
	s_branch .LBB31_8
.LBB31_30:
	s_nop 0
	s_sendmsg sendmsg(MSG_DEALLOC_VGPRS)
	s_endpgm
	.section	.rodata,"a",@progbits
	.p2align	6, 0x0
	.amdhsa_kernel _ZN9rocsparseL29bsrmmnt_small_blockdim_kernelILj64ELj32ELj2EllffffEEv20rocsparse_direction_T3_S2_llNS_24const_host_device_scalarIT7_EEPKT2_PKS2_PKT4_PKT5_llS5_PT6_ll16rocsparse_order_21rocsparse_index_base_b
		.amdhsa_group_segment_fixed_size 1280
		.amdhsa_private_segment_fixed_size 0
		.amdhsa_kernarg_size 400
		.amdhsa_user_sgpr_count 15
		.amdhsa_user_sgpr_dispatch_ptr 0
		.amdhsa_user_sgpr_queue_ptr 0
		.amdhsa_user_sgpr_kernarg_segment_ptr 1
		.amdhsa_user_sgpr_dispatch_id 0
		.amdhsa_user_sgpr_private_segment_size 0
		.amdhsa_wavefront_size32 1
		.amdhsa_uses_dynamic_stack 0
		.amdhsa_enable_private_segment 0
		.amdhsa_system_sgpr_workgroup_id_x 1
		.amdhsa_system_sgpr_workgroup_id_y 0
		.amdhsa_system_sgpr_workgroup_id_z 0
		.amdhsa_system_sgpr_workgroup_info 0
		.amdhsa_system_vgpr_workitem_id 0
		.amdhsa_next_free_vgpr 32
		.amdhsa_next_free_sgpr 28
		.amdhsa_reserve_vcc 1
		.amdhsa_float_round_mode_32 0
		.amdhsa_float_round_mode_16_64 0
		.amdhsa_float_denorm_mode_32 3
		.amdhsa_float_denorm_mode_16_64 3
		.amdhsa_dx10_clamp 1
		.amdhsa_ieee_mode 1
		.amdhsa_fp16_overflow 0
		.amdhsa_workgroup_processor_mode 1
		.amdhsa_memory_ordered 1
		.amdhsa_forward_progress 0
		.amdhsa_shared_vgpr_count 0
		.amdhsa_exception_fp_ieee_invalid_op 0
		.amdhsa_exception_fp_denorm_src 0
		.amdhsa_exception_fp_ieee_div_zero 0
		.amdhsa_exception_fp_ieee_overflow 0
		.amdhsa_exception_fp_ieee_underflow 0
		.amdhsa_exception_fp_ieee_inexact 0
		.amdhsa_exception_int_div_zero 0
	.end_amdhsa_kernel
	.section	.text._ZN9rocsparseL29bsrmmnt_small_blockdim_kernelILj64ELj32ELj2EllffffEEv20rocsparse_direction_T3_S2_llNS_24const_host_device_scalarIT7_EEPKT2_PKS2_PKT4_PKT5_llS5_PT6_ll16rocsparse_order_21rocsparse_index_base_b,"axG",@progbits,_ZN9rocsparseL29bsrmmnt_small_blockdim_kernelILj64ELj32ELj2EllffffEEv20rocsparse_direction_T3_S2_llNS_24const_host_device_scalarIT7_EEPKT2_PKS2_PKT4_PKT5_llS5_PT6_ll16rocsparse_order_21rocsparse_index_base_b,comdat
.Lfunc_end31:
	.size	_ZN9rocsparseL29bsrmmnt_small_blockdim_kernelILj64ELj32ELj2EllffffEEv20rocsparse_direction_T3_S2_llNS_24const_host_device_scalarIT7_EEPKT2_PKS2_PKT4_PKT5_llS5_PT6_ll16rocsparse_order_21rocsparse_index_base_b, .Lfunc_end31-_ZN9rocsparseL29bsrmmnt_small_blockdim_kernelILj64ELj32ELj2EllffffEEv20rocsparse_direction_T3_S2_llNS_24const_host_device_scalarIT7_EEPKT2_PKS2_PKT4_PKT5_llS5_PT6_ll16rocsparse_order_21rocsparse_index_base_b
                                        ; -- End function
	.section	.AMDGPU.csdata,"",@progbits
; Kernel info:
; codeLenInByte = 1616
; NumSgprs: 30
; NumVgprs: 32
; ScratchSize: 0
; MemoryBound: 0
; FloatMode: 240
; IeeeMode: 1
; LDSByteSize: 1280 bytes/workgroup (compile time only)
; SGPRBlocks: 3
; VGPRBlocks: 3
; NumSGPRsForWavesPerEU: 30
; NumVGPRsForWavesPerEU: 32
; Occupancy: 16
; WaveLimiterHint : 1
; COMPUTE_PGM_RSRC2:SCRATCH_EN: 0
; COMPUTE_PGM_RSRC2:USER_SGPR: 15
; COMPUTE_PGM_RSRC2:TRAP_HANDLER: 0
; COMPUTE_PGM_RSRC2:TGID_X_EN: 1
; COMPUTE_PGM_RSRC2:TGID_Y_EN: 0
; COMPUTE_PGM_RSRC2:TGID_Z_EN: 0
; COMPUTE_PGM_RSRC2:TIDIG_COMP_CNT: 0
	.section	.text._ZN9rocsparseL29bsrmmnt_small_blockdim_kernelILj64ELj64ELj2EllffffEEv20rocsparse_direction_T3_S2_llNS_24const_host_device_scalarIT7_EEPKT2_PKS2_PKT4_PKT5_llS5_PT6_ll16rocsparse_order_21rocsparse_index_base_b,"axG",@progbits,_ZN9rocsparseL29bsrmmnt_small_blockdim_kernelILj64ELj64ELj2EllffffEEv20rocsparse_direction_T3_S2_llNS_24const_host_device_scalarIT7_EEPKT2_PKS2_PKT4_PKT5_llS5_PT6_ll16rocsparse_order_21rocsparse_index_base_b,comdat
	.globl	_ZN9rocsparseL29bsrmmnt_small_blockdim_kernelILj64ELj64ELj2EllffffEEv20rocsparse_direction_T3_S2_llNS_24const_host_device_scalarIT7_EEPKT2_PKS2_PKT4_PKT5_llS5_PT6_ll16rocsparse_order_21rocsparse_index_base_b ; -- Begin function _ZN9rocsparseL29bsrmmnt_small_blockdim_kernelILj64ELj64ELj2EllffffEEv20rocsparse_direction_T3_S2_llNS_24const_host_device_scalarIT7_EEPKT2_PKS2_PKT4_PKT5_llS5_PT6_ll16rocsparse_order_21rocsparse_index_base_b
	.p2align	8
	.type	_ZN9rocsparseL29bsrmmnt_small_blockdim_kernelILj64ELj64ELj2EllffffEEv20rocsparse_direction_T3_S2_llNS_24const_host_device_scalarIT7_EEPKT2_PKS2_PKT4_PKT5_llS5_PT6_ll16rocsparse_order_21rocsparse_index_base_b,@function
_ZN9rocsparseL29bsrmmnt_small_blockdim_kernelILj64ELj64ELj2EllffffEEv20rocsparse_direction_T3_S2_llNS_24const_host_device_scalarIT7_EEPKT2_PKS2_PKT4_PKT5_llS5_PT6_ll16rocsparse_order_21rocsparse_index_base_b: ; @_ZN9rocsparseL29bsrmmnt_small_blockdim_kernelILj64ELj64ELj2EllffffEEv20rocsparse_direction_T3_S2_llNS_24const_host_device_scalarIT7_EEPKT2_PKS2_PKT4_PKT5_llS5_PT6_ll16rocsparse_order_21rocsparse_index_base_b
; %bb.0:
	s_clause 0x2
	s_load_b128 s[20:23], s[0:1], 0x80
	s_load_b64 s[2:3], s[0:1], 0x28
	s_load_b64 s[24:25], s[0:1], 0x60
	s_waitcnt lgkmcnt(0)
	s_bitcmp1_b32 s22, 0
	s_cselect_b32 s4, -1, 0
	s_delay_alu instid0(SALU_CYCLE_1)
	s_and_b32 vcc_lo, exec_lo, s4
	s_xor_b32 s4, s4, -1
	s_cbranch_vccnz .LBB32_2
; %bb.1:
	s_load_b32 s2, s[2:3], 0x0
.LBB32_2:
	s_and_not1_b32 vcc_lo, exec_lo, s4
	s_cbranch_vccnz .LBB32_4
; %bb.3:
	s_load_b32 s24, s[24:25], 0x0
.LBB32_4:
	s_waitcnt lgkmcnt(0)
	v_cmp_eq_f32_e64 s3, s2, 0
	v_cmp_eq_f32_e64 s4, s24, 1.0
	s_delay_alu instid0(VALU_DEP_1) | instskip(NEXT) | instid1(SALU_CYCLE_1)
	s_and_b32 s3, s3, s4
	s_and_b32 vcc_lo, exec_lo, s3
	s_cbranch_vccnz .LBB32_30
; %bb.5:
	s_clause 0x1
	s_load_b32 s3, s[0:1], 0x9c
	s_load_b128 s[16:19], s[0:1], 0x8
	v_mov_b32_e32 v3, 0
	s_waitcnt lgkmcnt(0)
	s_and_b32 s3, s3, 0xffff
	s_delay_alu instid0(SALU_CYCLE_1) | instskip(SKIP_1) | instid1(VALU_DEP_1)
	v_mad_u64_u32 v[1:2], null, s15, s3, v[0:1]
	s_mov_b32 s3, exec_lo
	v_lshrrev_b32_e32 v2, 7, v1
	s_delay_alu instid0(VALU_DEP_1)
	v_cmpx_gt_i64_e64 s[16:17], v[2:3]
	s_cbranch_execz .LBB32_30
; %bb.6:
	v_cmp_lt_i64_e64 s3, s[18:19], 1
	s_delay_alu instid0(VALU_DEP_1)
	s_and_b32 vcc_lo, exec_lo, s3
	s_cbranch_vccnz .LBB32_30
; %bb.7:
	s_load_b256 s[4:11], s[0:1], 0x30
	v_dual_mov_b32 v11, 0 :: v_dual_lshlrev_b32 v2, 3, v2
	s_load_b128 s[12:15], s[0:1], 0x68
	v_lshrrev_b32_e32 v4, 6, v1
	s_cmp_lg_u32 s20, 1
	v_lshl_add_u32 v15, v0, 3, 0x300
	s_cselect_b32 s22, -1, 0
	v_cmp_neq_f32_e64 s20, s24, 0
	s_mov_b32 s3, s21
	s_waitcnt lgkmcnt(0)
	global_load_b128 v[5:8], v2, s[4:5]
	s_clause 0x1
	s_load_b64 s[4:5], s[0:1], 0x50
	s_load_b32 s0, s[0:1], 0x0
	v_mad_u64_u32 v[2:3], null, v4, s14, 0
	s_delay_alu instid0(VALU_DEP_1) | instskip(SKIP_2) | instid1(VALU_DEP_3)
	v_mad_u64_u32 v[9:10], null, v4, s15, v[3:4]
	v_bfe_u32 v10, v1, 6, 1
	v_mul_u32_u24_e32 v1, 3, v0
	v_dual_mov_b32 v3, v9 :: v_dual_lshlrev_b32 v4, 2, v4
	s_delay_alu instid0(VALU_DEP_2) | instskip(SKIP_2) | instid1(VALU_DEP_2)
	v_lshlrev_b32_e32 v16, 2, v1
	s_waitcnt lgkmcnt(0)
	s_cmp_eq_u32 s0, 0
	v_add_co_u32 v17, s0, s12, v4
	v_lshlrev_b64 v[1:2], 2, v[2:3]
	s_cselect_b32 s1, -1, 0
	v_add_co_ci_u32_e64 v18, null, s13, 0, s0
	v_cndmask_b32_e64 v9, 0, 1, s1
	s_and_b32 s1, s1, exec_lo
	s_delay_alu instid0(VALU_DEP_3)
	v_add_co_u32 v19, vcc_lo, s12, v1
	v_add_co_ci_u32_e32 v20, vcc_lo, s13, v2, vcc_lo
	s_mov_b64 s[12:13], 0
	s_waitcnt vmcnt(0)
	v_sub_co_u32 v1, vcc_lo, v5, s21
	v_subrev_co_ci_u32_e32 v2, vcc_lo, 0, v6, vcc_lo
	v_sub_co_u32 v3, vcc_lo, v7, s21
	v_cmp_lt_i64_e64 s0, v[5:6], v[7:8]
	v_lshlrev_b64 v[5:6], v9, v[10:11]
	v_subrev_co_ci_u32_e32 v4, vcc_lo, 0, v8, vcc_lo
	s_cselect_b32 s21, 1, 2
	s_lshl_b64 s[16:17], s[4:5], 2
	s_branch .LBB32_9
.LBB32_8:                               ;   in Loop: Header=BB32_9 Depth=1
	s_or_b32 exec_lo, exec_lo, s1
	s_add_u32 s12, s12, 64
	s_addc_u32 s13, s13, 0
	s_delay_alu instid0(SALU_CYCLE_1) | instskip(NEXT) | instid1(VALU_DEP_1)
	v_cmp_lt_i64_e64 s1, s[12:13], s[18:19]
	s_and_b32 vcc_lo, exec_lo, s1
	s_cbranch_vccz .LBB32_30
.LBB32_9:                               ; =>This Loop Header: Depth=1
                                        ;     Child Loop BB32_12 Depth 2
                                        ;       Child Loop BB32_16 Depth 3
	v_or_b32_e64 v8, s13, 0
	v_or_b32_e32 v7, s12, v0
	v_mov_b32_e32 v21, 0
	s_and_saveexec_b32 s23, s0
	s_cbranch_execz .LBB32_18
; %bb.10:                               ;   in Loop: Header=BB32_9 Depth=1
	s_delay_alu instid0(VALU_DEP_2) | instskip(SKIP_3) | instid1(VALU_DEP_3)
	v_lshlrev_b64 v[9:10], 2, v[7:8]
	v_cmp_gt_i64_e32 vcc_lo, s[18:19], v[7:8]
	v_mov_b32_e32 v21, 0
	s_mov_b32 s25, 0
	v_add_co_u32 v22, s1, s10, v9
	s_delay_alu instid0(VALU_DEP_1)
	v_add_co_ci_u32_e64 v23, s1, s11, v10, s1
	v_dual_mov_b32 v10, v2 :: v_dual_mov_b32 v9, v1
	s_branch .LBB32_12
.LBB32_11:                              ;   in Loop: Header=BB32_12 Depth=2
	s_or_b32 exec_lo, exec_lo, s26
	v_add_co_u32 v9, s1, v9, 64
	s_delay_alu instid0(VALU_DEP_1) | instskip(NEXT) | instid1(VALU_DEP_1)
	v_add_co_ci_u32_e64 v10, s1, 0, v10, s1
	v_cmp_ge_i64_e64 s1, v[9:10], v[3:4]
	s_delay_alu instid0(VALU_DEP_1) | instskip(NEXT) | instid1(SALU_CYCLE_1)
	s_or_b32 s25, s1, s25
	s_and_not1_b32 exec_lo, exec_lo, s25
	s_cbranch_execz .LBB32_17
.LBB32_12:                              ;   Parent Loop BB32_9 Depth=1
                                        ; =>  This Loop Header: Depth=2
                                        ;       Child Loop BB32_16 Depth 3
	s_delay_alu instid0(VALU_DEP_1) | instskip(SKIP_1) | instid1(VALU_DEP_3)
	v_add_co_u32 v11, s1, v9, v0
	v_dual_mov_b32 v13, 0 :: v_dual_mov_b32 v24, 0
	v_add_co_ci_u32_e64 v12, s1, 0, v10, s1
	v_dual_mov_b32 v14, 0 :: v_dual_mov_b32 v25, 0
	s_mov_b32 s26, exec_lo
	s_delay_alu instid0(VALU_DEP_2)
	v_cmpx_lt_i64_e64 v[11:12], v[3:4]
	s_cbranch_execz .LBB32_14
; %bb.13:                               ;   in Loop: Header=BB32_12 Depth=2
	v_lshlrev_b64 v[13:14], 2, v[11:12]
	v_lshlrev_b64 v[11:12], 3, v[11:12]
	s_delay_alu instid0(VALU_DEP_2) | instskip(NEXT) | instid1(VALU_DEP_3)
	v_or_b32_e32 v14, v14, v6
	v_or_b32_e32 v13, v13, v5
	s_delay_alu instid0(VALU_DEP_3) | instskip(NEXT) | instid1(VALU_DEP_1)
	v_add_co_u32 v11, s1, s6, v11
	v_add_co_ci_u32_e64 v12, s1, s7, v12, s1
	s_delay_alu instid0(VALU_DEP_4) | instskip(NEXT) | instid1(VALU_DEP_4)
	v_or_b32_e32 v25, 0, v14
	v_or_b32_e32 v24, s21, v13
	v_lshlrev_b64 v[13:14], 2, v[13:14]
	global_load_b64 v[11:12], v[11:12], off
	v_lshlrev_b64 v[24:25], 2, v[24:25]
	v_add_co_u32 v13, s1, s8, v13
	s_delay_alu instid0(VALU_DEP_1) | instskip(NEXT) | instid1(VALU_DEP_3)
	v_add_co_ci_u32_e64 v14, s1, s9, v14, s1
	v_add_co_u32 v26, s1, s8, v24
	s_delay_alu instid0(VALU_DEP_1)
	v_add_co_ci_u32_e64 v27, s1, s9, v25, s1
	s_clause 0x1
	global_load_b32 v24, v[13:14], off
	global_load_b32 v25, v[26:27], off
	s_waitcnt vmcnt(2)
	v_sub_co_u32 v11, s1, v11, s3
	s_delay_alu instid0(VALU_DEP_1) | instskip(NEXT) | instid1(VALU_DEP_1)
	v_subrev_co_ci_u32_e64 v12, s1, 0, v12, s1
	v_lshlrev_b64 v[13:14], 1, v[11:12]
.LBB32_14:                              ;   in Loop: Header=BB32_12 Depth=2
	s_or_b32 exec_lo, exec_lo, s26
	ds_store_b64 v15, v[13:14]
	s_waitcnt vmcnt(0)
	ds_store_2addr_b32 v16, v24, v25 offset1:1
	s_waitcnt lgkmcnt(0)
	s_waitcnt_vscnt null, 0x0
	s_barrier
	buffer_gl0_inv
	s_and_saveexec_b32 s26, vcc_lo
	s_cbranch_execz .LBB32_11
; %bb.15:                               ;   in Loop: Header=BB32_12 Depth=2
	v_mov_b32_e32 v11, 0
	s_mov_b32 s27, 0
.LBB32_16:                              ;   Parent Loop BB32_9 Depth=1
                                        ;     Parent Loop BB32_12 Depth=2
                                        ; =>    This Inner Loop Header: Depth=3
	s_delay_alu instid0(SALU_CYCLE_1) | instskip(SKIP_1) | instid1(SALU_CYCLE_1)
	v_add_nc_u32_e64 v12, 0x300, s27
	s_add_i32 s27, s27, 16
	s_cmpk_lg_i32 s27, 0x200
	ds_load_b128 v[24:27], v12
	s_waitcnt lgkmcnt(0)
	v_mul_lo_u32 v14, v25, s4
	v_mul_lo_u32 v28, v24, s5
	v_mad_u64_u32 v[12:13], null, v24, s4, 0
	v_mul_lo_u32 v27, v27, s4
	v_mul_lo_u32 v29, v26, s5
	v_mad_u64_u32 v[24:25], null, v26, s4, 0
	s_delay_alu instid0(VALU_DEP_4) | instskip(NEXT) | instid1(VALU_DEP_2)
	v_add3_u32 v13, v13, v28, v14
	v_add3_u32 v25, v25, v29, v27
	s_delay_alu instid0(VALU_DEP_2) | instskip(NEXT) | instid1(VALU_DEP_2)
	v_lshlrev_b64 v[12:13], 2, v[12:13]
	v_lshlrev_b64 v[24:25], 2, v[24:25]
	s_delay_alu instid0(VALU_DEP_2) | instskip(NEXT) | instid1(VALU_DEP_1)
	v_add_co_u32 v12, s1, v22, v12
	v_add_co_ci_u32_e64 v13, s1, v23, v13, s1
	global_load_b32 v14, v[12:13], off
	v_add_co_u32 v12, s1, v12, s16
	s_delay_alu instid0(VALU_DEP_1) | instskip(SKIP_1) | instid1(VALU_DEP_1)
	v_add_co_ci_u32_e64 v13, s1, s17, v13, s1
	v_add_co_u32 v24, s1, v22, v24
	v_add_co_ci_u32_e64 v25, s1, v23, v25, s1
	global_load_b32 v26, v[12:13], off
	v_add_co_u32 v12, s1, v24, s16
	s_delay_alu instid0(VALU_DEP_1)
	v_add_co_ci_u32_e64 v13, s1, s17, v25, s1
	s_clause 0x1
	global_load_b32 v27, v[24:25], off
	global_load_b32 v28, v[12:13], off
	ds_load_b64 v[12:13], v11
	ds_load_2addr_b32 v[24:25], v11 offset0:3 offset1:4
	v_add_nc_u32_e32 v11, 24, v11
	s_waitcnt vmcnt(3) lgkmcnt(1)
	v_fmac_f32_e32 v21, v12, v14
	s_waitcnt vmcnt(2)
	s_delay_alu instid0(VALU_DEP_1) | instskip(SKIP_1) | instid1(VALU_DEP_1)
	v_fmac_f32_e32 v21, v13, v26
	s_waitcnt vmcnt(1) lgkmcnt(0)
	v_fmac_f32_e32 v21, v24, v27
	s_waitcnt vmcnt(0)
	s_delay_alu instid0(VALU_DEP_1)
	v_fmac_f32_e32 v21, v25, v28
	s_cbranch_scc1 .LBB32_16
	s_branch .LBB32_11
.LBB32_17:                              ;   in Loop: Header=BB32_9 Depth=1
	s_or_b32 exec_lo, exec_lo, s25
.LBB32_18:                              ;   in Loop: Header=BB32_9 Depth=1
	s_delay_alu instid0(SALU_CYCLE_1) | instskip(NEXT) | instid1(SALU_CYCLE_1)
	s_or_b32 exec_lo, exec_lo, s23
	s_mov_b32 s1, exec_lo
	v_cmpx_gt_i64_e64 s[18:19], v[7:8]
	s_cbranch_execz .LBB32_8
; %bb.19:                               ;   in Loop: Header=BB32_9 Depth=1
	s_and_b32 vcc_lo, exec_lo, s20
	s_cbranch_vccz .LBB32_25
; %bb.20:                               ;   in Loop: Header=BB32_9 Depth=1
	s_and_b32 vcc_lo, exec_lo, s22
	s_mov_b32 s23, -1
	s_cbranch_vccz .LBB32_22
; %bb.21:                               ;   in Loop: Header=BB32_9 Depth=1
	v_lshlrev_b64 v[9:10], 2, v[7:8]
	v_mul_f32_e32 v12, s2, v21
	s_mov_b32 s23, 0
	s_delay_alu instid0(VALU_DEP_2) | instskip(NEXT) | instid1(VALU_DEP_3)
	v_add_co_u32 v9, vcc_lo, v19, v9
	v_add_co_ci_u32_e32 v10, vcc_lo, v20, v10, vcc_lo
	global_load_b32 v11, v[9:10], off
	s_waitcnt vmcnt(0)
	v_fmac_f32_e32 v12, s24, v11
	global_store_b32 v[9:10], v12, off
.LBB32_22:                              ;   in Loop: Header=BB32_9 Depth=1
	s_and_not1_b32 vcc_lo, exec_lo, s23
	s_cbranch_vccnz .LBB32_24
; %bb.23:                               ;   in Loop: Header=BB32_9 Depth=1
	v_mul_lo_u32 v11, v8, s14
	v_mul_lo_u32 v12, v7, s15
	v_mad_u64_u32 v[9:10], null, v7, s14, 0
	s_delay_alu instid0(VALU_DEP_1) | instskip(SKIP_1) | instid1(VALU_DEP_2)
	v_add3_u32 v10, v10, v12, v11
	v_mul_f32_e32 v12, s2, v21
	v_lshlrev_b64 v[9:10], 2, v[9:10]
	s_delay_alu instid0(VALU_DEP_1) | instskip(NEXT) | instid1(VALU_DEP_2)
	v_add_co_u32 v9, vcc_lo, v17, v9
	v_add_co_ci_u32_e32 v10, vcc_lo, v18, v10, vcc_lo
	global_load_b32 v11, v[9:10], off
	s_waitcnt vmcnt(0)
	v_fmac_f32_e32 v12, s24, v11
	global_store_b32 v[9:10], v12, off
.LBB32_24:                              ;   in Loop: Header=BB32_9 Depth=1
	s_cbranch_execnz .LBB32_8
	s_branch .LBB32_26
.LBB32_25:                              ;   in Loop: Header=BB32_9 Depth=1
.LBB32_26:                              ;   in Loop: Header=BB32_9 Depth=1
	v_mul_f32_e32 v9, s2, v21
	s_and_b32 vcc_lo, exec_lo, s22
	s_mov_b32 s23, -1
	s_cbranch_vccz .LBB32_28
; %bb.27:                               ;   in Loop: Header=BB32_9 Depth=1
	v_lshlrev_b64 v[10:11], 2, v[7:8]
	s_mov_b32 s23, 0
	s_delay_alu instid0(VALU_DEP_1) | instskip(NEXT) | instid1(VALU_DEP_2)
	v_add_co_u32 v10, vcc_lo, v19, v10
	v_add_co_ci_u32_e32 v11, vcc_lo, v20, v11, vcc_lo
	global_store_b32 v[10:11], v9, off
.LBB32_28:                              ;   in Loop: Header=BB32_9 Depth=1
	s_and_not1_b32 vcc_lo, exec_lo, s23
	s_cbranch_vccnz .LBB32_8
; %bb.29:                               ;   in Loop: Header=BB32_9 Depth=1
	v_mul_lo_u32 v8, v8, s14
	v_mul_lo_u32 v12, v7, s15
	v_mad_u64_u32 v[10:11], null, v7, s14, 0
	s_delay_alu instid0(VALU_DEP_1) | instskip(NEXT) | instid1(VALU_DEP_1)
	v_add3_u32 v11, v11, v12, v8
	v_lshlrev_b64 v[7:8], 2, v[10:11]
	s_delay_alu instid0(VALU_DEP_1) | instskip(NEXT) | instid1(VALU_DEP_2)
	v_add_co_u32 v7, vcc_lo, v17, v7
	v_add_co_ci_u32_e32 v8, vcc_lo, v18, v8, vcc_lo
	global_store_b32 v[7:8], v9, off
	s_branch .LBB32_8
.LBB32_30:
	s_nop 0
	s_sendmsg sendmsg(MSG_DEALLOC_VGPRS)
	s_endpgm
	.section	.rodata,"a",@progbits
	.p2align	6, 0x0
	.amdhsa_kernel _ZN9rocsparseL29bsrmmnt_small_blockdim_kernelILj64ELj64ELj2EllffffEEv20rocsparse_direction_T3_S2_llNS_24const_host_device_scalarIT7_EEPKT2_PKS2_PKT4_PKT5_llS5_PT6_ll16rocsparse_order_21rocsparse_index_base_b
		.amdhsa_group_segment_fixed_size 1280
		.amdhsa_private_segment_fixed_size 0
		.amdhsa_kernarg_size 400
		.amdhsa_user_sgpr_count 15
		.amdhsa_user_sgpr_dispatch_ptr 0
		.amdhsa_user_sgpr_queue_ptr 0
		.amdhsa_user_sgpr_kernarg_segment_ptr 1
		.amdhsa_user_sgpr_dispatch_id 0
		.amdhsa_user_sgpr_private_segment_size 0
		.amdhsa_wavefront_size32 1
		.amdhsa_uses_dynamic_stack 0
		.amdhsa_enable_private_segment 0
		.amdhsa_system_sgpr_workgroup_id_x 1
		.amdhsa_system_sgpr_workgroup_id_y 0
		.amdhsa_system_sgpr_workgroup_id_z 0
		.amdhsa_system_sgpr_workgroup_info 0
		.amdhsa_system_vgpr_workitem_id 0
		.amdhsa_next_free_vgpr 30
		.amdhsa_next_free_sgpr 28
		.amdhsa_reserve_vcc 1
		.amdhsa_float_round_mode_32 0
		.amdhsa_float_round_mode_16_64 0
		.amdhsa_float_denorm_mode_32 3
		.amdhsa_float_denorm_mode_16_64 3
		.amdhsa_dx10_clamp 1
		.amdhsa_ieee_mode 1
		.amdhsa_fp16_overflow 0
		.amdhsa_workgroup_processor_mode 1
		.amdhsa_memory_ordered 1
		.amdhsa_forward_progress 0
		.amdhsa_shared_vgpr_count 0
		.amdhsa_exception_fp_ieee_invalid_op 0
		.amdhsa_exception_fp_denorm_src 0
		.amdhsa_exception_fp_ieee_div_zero 0
		.amdhsa_exception_fp_ieee_overflow 0
		.amdhsa_exception_fp_ieee_underflow 0
		.amdhsa_exception_fp_ieee_inexact 0
		.amdhsa_exception_int_div_zero 0
	.end_amdhsa_kernel
	.section	.text._ZN9rocsparseL29bsrmmnt_small_blockdim_kernelILj64ELj64ELj2EllffffEEv20rocsparse_direction_T3_S2_llNS_24const_host_device_scalarIT7_EEPKT2_PKS2_PKT4_PKT5_llS5_PT6_ll16rocsparse_order_21rocsparse_index_base_b,"axG",@progbits,_ZN9rocsparseL29bsrmmnt_small_blockdim_kernelILj64ELj64ELj2EllffffEEv20rocsparse_direction_T3_S2_llNS_24const_host_device_scalarIT7_EEPKT2_PKS2_PKT4_PKT5_llS5_PT6_ll16rocsparse_order_21rocsparse_index_base_b,comdat
.Lfunc_end32:
	.size	_ZN9rocsparseL29bsrmmnt_small_blockdim_kernelILj64ELj64ELj2EllffffEEv20rocsparse_direction_T3_S2_llNS_24const_host_device_scalarIT7_EEPKT2_PKS2_PKT4_PKT5_llS5_PT6_ll16rocsparse_order_21rocsparse_index_base_b, .Lfunc_end32-_ZN9rocsparseL29bsrmmnt_small_blockdim_kernelILj64ELj64ELj2EllffffEEv20rocsparse_direction_T3_S2_llNS_24const_host_device_scalarIT7_EEPKT2_PKS2_PKT4_PKT5_llS5_PT6_ll16rocsparse_order_21rocsparse_index_base_b
                                        ; -- End function
	.section	.AMDGPU.csdata,"",@progbits
; Kernel info:
; codeLenInByte = 1580
; NumSgprs: 30
; NumVgprs: 30
; ScratchSize: 0
; MemoryBound: 0
; FloatMode: 240
; IeeeMode: 1
; LDSByteSize: 1280 bytes/workgroup (compile time only)
; SGPRBlocks: 3
; VGPRBlocks: 3
; NumSGPRsForWavesPerEU: 30
; NumVGPRsForWavesPerEU: 30
; Occupancy: 16
; WaveLimiterHint : 1
; COMPUTE_PGM_RSRC2:SCRATCH_EN: 0
; COMPUTE_PGM_RSRC2:USER_SGPR: 15
; COMPUTE_PGM_RSRC2:TRAP_HANDLER: 0
; COMPUTE_PGM_RSRC2:TGID_X_EN: 1
; COMPUTE_PGM_RSRC2:TGID_Y_EN: 0
; COMPUTE_PGM_RSRC2:TGID_Z_EN: 0
; COMPUTE_PGM_RSRC2:TIDIG_COMP_CNT: 0
	.section	.text._ZN9rocsparseL29bsrmmnt_small_blockdim_kernelILj64ELj8ELj2EiiddddEEv20rocsparse_direction_T3_S2_llNS_24const_host_device_scalarIT7_EEPKT2_PKS2_PKT4_PKT5_llS5_PT6_ll16rocsparse_order_21rocsparse_index_base_b,"axG",@progbits,_ZN9rocsparseL29bsrmmnt_small_blockdim_kernelILj64ELj8ELj2EiiddddEEv20rocsparse_direction_T3_S2_llNS_24const_host_device_scalarIT7_EEPKT2_PKS2_PKT4_PKT5_llS5_PT6_ll16rocsparse_order_21rocsparse_index_base_b,comdat
	.globl	_ZN9rocsparseL29bsrmmnt_small_blockdim_kernelILj64ELj8ELj2EiiddddEEv20rocsparse_direction_T3_S2_llNS_24const_host_device_scalarIT7_EEPKT2_PKS2_PKT4_PKT5_llS5_PT6_ll16rocsparse_order_21rocsparse_index_base_b ; -- Begin function _ZN9rocsparseL29bsrmmnt_small_blockdim_kernelILj64ELj8ELj2EiiddddEEv20rocsparse_direction_T3_S2_llNS_24const_host_device_scalarIT7_EEPKT2_PKS2_PKT4_PKT5_llS5_PT6_ll16rocsparse_order_21rocsparse_index_base_b
	.p2align	8
	.type	_ZN9rocsparseL29bsrmmnt_small_blockdim_kernelILj64ELj8ELj2EiiddddEEv20rocsparse_direction_T3_S2_llNS_24const_host_device_scalarIT7_EEPKT2_PKS2_PKT4_PKT5_llS5_PT6_ll16rocsparse_order_21rocsparse_index_base_b,@function
_ZN9rocsparseL29bsrmmnt_small_blockdim_kernelILj64ELj8ELj2EiiddddEEv20rocsparse_direction_T3_S2_llNS_24const_host_device_scalarIT7_EEPKT2_PKS2_PKT4_PKT5_llS5_PT6_ll16rocsparse_order_21rocsparse_index_base_b: ; @_ZN9rocsparseL29bsrmmnt_small_blockdim_kernelILj64ELj8ELj2EiiddddEEv20rocsparse_direction_T3_S2_llNS_24const_host_device_scalarIT7_EEPKT2_PKS2_PKT4_PKT5_llS5_PT6_ll16rocsparse_order_21rocsparse_index_base_b
; %bb.0:
	s_clause 0x2
	s_load_b128 s[16:19], s[0:1], 0x78
	s_load_b64 s[4:5], s[0:1], 0x20
	s_load_b64 s[2:3], s[0:1], 0x58
	s_waitcnt lgkmcnt(0)
	s_bitcmp1_b32 s18, 0
	v_dual_mov_b32 v1, s4 :: v_dual_mov_b32 v2, s5
	s_cselect_b32 s6, -1, 0
	s_delay_alu instid0(SALU_CYCLE_1)
	s_and_b32 vcc_lo, exec_lo, s6
	s_xor_b32 s6, s6, -1
	s_cbranch_vccnz .LBB33_2
; %bb.1:
	v_dual_mov_b32 v1, s4 :: v_dual_mov_b32 v2, s5
	flat_load_b64 v[1:2], v[1:2]
.LBB33_2:
	v_dual_mov_b32 v4, s3 :: v_dual_mov_b32 v3, s2
	s_and_not1_b32 vcc_lo, exec_lo, s6
	s_cbranch_vccnz .LBB33_4
; %bb.3:
	v_dual_mov_b32 v4, s3 :: v_dual_mov_b32 v3, s2
	flat_load_b64 v[3:4], v[3:4]
.LBB33_4:
	s_waitcnt vmcnt(0) lgkmcnt(0)
	v_cmp_neq_f64_e32 vcc_lo, 0, v[1:2]
	v_cmp_neq_f64_e64 s2, 1.0, v[3:4]
	s_delay_alu instid0(VALU_DEP_1) | instskip(NEXT) | instid1(SALU_CYCLE_1)
	s_or_b32 s2, vcc_lo, s2
	s_and_saveexec_b32 s3, s2
	s_cbranch_execz .LBB33_29
; %bb.5:
	s_clause 0x1
	s_load_b32 s2, s[0:1], 0x94
	s_load_b128 s[20:23], s[0:1], 0x0
	s_waitcnt lgkmcnt(0)
	s_and_b32 s2, s2, 0xffff
	s_delay_alu instid0(SALU_CYCLE_1) | instskip(NEXT) | instid1(VALU_DEP_1)
	v_mad_u64_u32 v[5:6], null, s15, s2, v[0:1]
	v_lshrrev_b32_e32 v6, 4, v5
	s_delay_alu instid0(VALU_DEP_1)
	v_cmp_gt_i32_e32 vcc_lo, s21, v6
	s_and_b32 exec_lo, exec_lo, vcc_lo
	s_cbranch_execz .LBB33_29
; %bb.6:
	s_cmp_lt_i32 s22, 1
	s_cbranch_scc1 .LBB33_29
; %bb.7:
	s_load_b256 s[4:11], s[0:1], 0x28
	v_lshlrev_b32_e32 v6, 2, v6
	s_load_b128 s[12:15], s[0:1], 0x60
	v_lshrrev_b32_e32 v12, 3, v5
	v_bfe_u32 v13, v5, 3, 1
	v_and_b32_e32 v5, -8, v5
	v_and_b32_e32 v19, 7, v0
	s_cmp_lg_u32 s16, 1
	v_lshrrev_b32_e32 v14, 3, v0
	s_cselect_b32 s3, -1, 0
	s_cmp_eq_u32 s20, 0
	s_cselect_b32 s2, -1, 0
	s_delay_alu instid0(VALU_DEP_1)
	v_lshl_or_b32 v0, v14, 5, 0x600
	v_mul_u32_u24_e32 v20, 0xc0, v14
	s_waitcnt lgkmcnt(0)
	global_load_b64 v[6:7], v6, s[4:5]
	s_load_b64 s[4:5], s[0:1], 0x48
	v_cmp_neq_f64_e64 s0, 0, v[3:4]
	v_mad_u64_u32 v[8:9], null, v12, s14, 0
	v_add_co_u32 v24, s1, s12, v5
	s_delay_alu instid0(VALU_DEP_1) | instskip(NEXT) | instid1(VALU_DEP_3)
	v_add_co_ci_u32_e64 v25, null, s13, 0, s1
	v_mad_u64_u32 v[10:11], null, v12, s15, v[9:10]
	v_cndmask_b32_e64 v11, 0, 1, s2
	s_and_b32 s2, s2, exec_lo
	s_delay_alu instid0(VALU_DEP_1)
	v_lshlrev_b32_e32 v21, v11, v13
	s_waitcnt vmcnt(0)
	v_subrev_nc_u32_e32 v28, s17, v6
	v_cmp_lt_i32_e64 s1, v6, v7
	v_mov_b32_e32 v6, 0
	v_mul_u32_u24_e32 v9, 3, v19
	v_lshl_or_b32 v22, v19, 2, v0
	v_subrev_nc_u32_e32 v29, s17, v7
	s_delay_alu instid0(VALU_DEP_3) | instskip(NEXT) | instid1(VALU_DEP_1)
	v_dual_mov_b32 v9, v10 :: v_dual_lshlrev_b32 v12, 3, v9
	v_mad_u32_u24 v23, 0xc0, v14, v12
	s_delay_alu instid0(VALU_DEP_2) | instskip(NEXT) | instid1(VALU_DEP_1)
	v_lshlrev_b64 v[8:9], 3, v[8:9]
	v_add_co_u32 v26, vcc_lo, s12, v8
	s_delay_alu instid0(VALU_DEP_2)
	v_add_co_ci_u32_e32 v27, vcc_lo, s13, v9, vcc_lo
	s_mov_b32 s12, 0
	s_cselect_b32 s13, 1, 2
	s_branch .LBB33_9
.LBB33_8:                               ;   in Loop: Header=BB33_9 Depth=1
	s_or_b32 exec_lo, exec_lo, s2
	s_add_i32 s12, s12, 8
	s_delay_alu instid0(SALU_CYCLE_1)
	s_cmp_lt_i32 s12, s22
	s_cbranch_scc0 .LBB33_29
.LBB33_9:                               ; =>This Loop Header: Depth=1
                                        ;     Child Loop BB33_12 Depth 2
                                        ;       Child Loop BB33_16 Depth 3
	v_or_b32_e32 v7, s12, v19
	v_mov_b32_e32 v9, 0
	v_mov_b32_e32 v10, 0
	s_delay_alu instid0(VALU_DEP_3)
	v_ashrrev_i32_e32 v8, 31, v7
	s_and_saveexec_b32 s16, s1
	s_cbranch_execz .LBB33_18
; %bb.10:                               ;   in Loop: Header=BB33_9 Depth=1
	s_delay_alu instid0(VALU_DEP_1) | instskip(SKIP_4) | instid1(VALU_DEP_4)
	v_lshlrev_b64 v[9:10], 3, v[7:8]
	v_dual_mov_b32 v11, 0 :: v_dual_mov_b32 v32, v28
	v_mov_b32_e32 v12, 0
	v_cmp_gt_i32_e32 vcc_lo, s22, v7
	s_mov_b32 s18, 0
	v_add_co_u32 v30, s2, s10, v9
	s_delay_alu instid0(VALU_DEP_1)
	v_add_co_ci_u32_e64 v31, s2, s11, v10, s2
	v_dual_mov_b32 v9, v11 :: v_dual_mov_b32 v10, v12
	s_branch .LBB33_12
.LBB33_11:                              ;   in Loop: Header=BB33_12 Depth=2
	s_or_b32 exec_lo, exec_lo, s19
	v_add_nc_u32_e32 v32, 8, v32
	s_delay_alu instid0(VALU_DEP_1) | instskip(NEXT) | instid1(VALU_DEP_1)
	v_cmp_ge_i32_e64 s2, v32, v29
	s_or_b32 s18, s2, s18
	s_delay_alu instid0(SALU_CYCLE_1)
	s_and_not1_b32 exec_lo, exec_lo, s18
	s_cbranch_execz .LBB33_17
.LBB33_12:                              ;   Parent Loop BB33_9 Depth=1
                                        ; =>  This Loop Header: Depth=2
                                        ;       Child Loop BB33_16 Depth 3
	v_dual_mov_b32 v5, 0 :: v_dual_mov_b32 v14, v12
	v_dual_mov_b32 v13, v11 :: v_dual_mov_b32 v16, v12
	v_add_nc_u32_e32 v17, v32, v19
	v_mov_b32_e32 v15, v11
	s_mov_b32 s19, exec_lo
	s_delay_alu instid0(VALU_DEP_2)
	v_cmpx_lt_i32_e64 v17, v29
	s_cbranch_execz .LBB33_14
; %bb.13:                               ;   in Loop: Header=BB33_12 Depth=2
	v_ashrrev_i32_e32 v18, 31, v17
	v_lshl_or_b32 v5, v17, 2, v21
	s_delay_alu instid0(VALU_DEP_2) | instskip(NEXT) | instid1(VALU_DEP_2)
	v_lshlrev_b64 v[13:14], 2, v[17:18]
	v_lshlrev_b64 v[15:16], 3, v[5:6]
	v_or_b32_e32 v5, s13, v5
	s_delay_alu instid0(VALU_DEP_3) | instskip(NEXT) | instid1(VALU_DEP_1)
	v_add_co_u32 v13, s2, s6, v13
	v_add_co_ci_u32_e64 v14, s2, s7, v14, s2
	s_delay_alu instid0(VALU_DEP_3) | instskip(SKIP_2) | instid1(VALU_DEP_1)
	v_lshlrev_b64 v[17:18], 3, v[5:6]
	global_load_b32 v5, v[13:14], off
	v_add_co_u32 v13, s2, s8, v15
	v_add_co_ci_u32_e64 v14, s2, s9, v16, s2
	v_add_co_u32 v15, s2, s8, v17
	s_delay_alu instid0(VALU_DEP_1)
	v_add_co_ci_u32_e64 v16, s2, s9, v18, s2
	s_clause 0x1
	global_load_b64 v[13:14], v[13:14], off
	global_load_b64 v[15:16], v[15:16], off
	s_waitcnt vmcnt(2)
	v_subrev_nc_u32_e32 v5, s17, v5
	s_delay_alu instid0(VALU_DEP_1)
	v_lshlrev_b32_e32 v5, 1, v5
.LBB33_14:                              ;   in Loop: Header=BB33_12 Depth=2
	s_or_b32 exec_lo, exec_lo, s19
	ds_store_b32 v22, v5
	s_waitcnt vmcnt(0)
	ds_store_2addr_b64 v23, v[13:14], v[15:16] offset1:1
	s_waitcnt lgkmcnt(0)
	s_waitcnt_vscnt null, 0x0
	s_barrier
	buffer_gl0_inv
	s_and_saveexec_b32 s19, vcc_lo
	s_cbranch_execz .LBB33_11
; %bb.15:                               ;   in Loop: Header=BB33_12 Depth=2
	v_mov_b32_e32 v5, v20
	s_mov_b32 s20, 0
.LBB33_16:                              ;   Parent Loop BB33_9 Depth=1
                                        ;     Parent Loop BB33_12 Depth=2
                                        ; =>    This Inner Loop Header: Depth=3
	s_delay_alu instid0(SALU_CYCLE_1) | instskip(SKIP_1) | instid1(SALU_CYCLE_1)
	v_add_nc_u32_e32 v13, s20, v0
	s_add_i32 s20, s20, 8
	s_cmp_lg_u32 s20, 32
	ds_load_b64 v[13:14], v13
	s_waitcnt lgkmcnt(0)
	v_ashrrev_i32_e32 v17, 31, v13
	v_mul_lo_u32 v18, v13, s5
	v_mad_u64_u32 v[15:16], null, v13, s4, 0
	v_add_nc_u32_e32 v13, 1, v13
	s_delay_alu instid0(VALU_DEP_4) | instskip(NEXT) | instid1(VALU_DEP_2)
	v_mul_lo_u32 v17, v17, s4
	v_ashrrev_i32_e32 v33, 31, v13
	v_mul_lo_u32 v34, v13, s5
	s_delay_alu instid0(VALU_DEP_3) | instskip(NEXT) | instid1(VALU_DEP_1)
	v_add3_u32 v16, v16, v18, v17
	v_lshlrev_b64 v[15:16], 3, v[15:16]
	s_delay_alu instid0(VALU_DEP_1) | instskip(NEXT) | instid1(VALU_DEP_1)
	v_add_co_u32 v15, s2, v30, v15
	v_add_co_ci_u32_e64 v16, s2, v31, v16, s2
	global_load_b64 v[17:18], v[15:16], off
	v_mad_u64_u32 v[15:16], null, v13, s4, 0
	v_mul_lo_u32 v13, v33, s4
	v_mul_lo_u32 v33, v14, s5
	s_delay_alu instid0(VALU_DEP_2) | instskip(SKIP_1) | instid1(VALU_DEP_2)
	v_add3_u32 v16, v16, v34, v13
	v_ashrrev_i32_e32 v13, 31, v14
	v_lshlrev_b64 v[15:16], 3, v[15:16]
	s_delay_alu instid0(VALU_DEP_2) | instskip(NEXT) | instid1(VALU_DEP_2)
	v_mul_lo_u32 v13, v13, s4
	v_add_co_u32 v15, s2, v30, v15
	s_delay_alu instid0(VALU_DEP_1) | instskip(SKIP_2) | instid1(VALU_DEP_1)
	v_add_co_ci_u32_e64 v16, s2, v31, v16, s2
	global_load_b64 v[37:38], v[15:16], off
	v_mad_u64_u32 v[15:16], null, v14, s4, 0
	v_add3_u32 v16, v16, v33, v13
	s_delay_alu instid0(VALU_DEP_1) | instskip(NEXT) | instid1(VALU_DEP_1)
	v_lshlrev_b64 v[15:16], 3, v[15:16]
	v_add_co_u32 v15, s2, v30, v15
	s_delay_alu instid0(VALU_DEP_1) | instskip(SKIP_2) | instid1(VALU_DEP_1)
	v_add_co_ci_u32_e64 v16, s2, v31, v16, s2
	global_load_b64 v[39:40], v[15:16], off
	v_add_nc_u32_e32 v15, 1, v14
	v_ashrrev_i32_e32 v16, 31, v15
	v_mul_lo_u32 v33, v15, s5
	v_mad_u64_u32 v[13:14], null, v15, s4, 0
	s_delay_alu instid0(VALU_DEP_3) | instskip(NEXT) | instid1(VALU_DEP_1)
	v_mul_lo_u32 v15, v16, s4
	v_add3_u32 v14, v14, v33, v15
	s_delay_alu instid0(VALU_DEP_1) | instskip(NEXT) | instid1(VALU_DEP_1)
	v_lshlrev_b64 v[13:14], 3, v[13:14]
	v_add_co_u32 v13, s2, v30, v13
	s_delay_alu instid0(VALU_DEP_1)
	v_add_co_ci_u32_e64 v14, s2, v31, v14, s2
	global_load_b64 v[41:42], v[13:14], off
	ds_load_b128 v[13:16], v5
	ds_load_2addr_b64 v[33:36], v5 offset0:3 offset1:4
	v_add_nc_u32_e32 v5, 48, v5
	s_waitcnt vmcnt(3) lgkmcnt(1)
	v_fma_f64 v[9:10], v[13:14], v[17:18], v[9:10]
	s_waitcnt vmcnt(2)
	s_delay_alu instid0(VALU_DEP_1) | instskip(SKIP_1) | instid1(VALU_DEP_1)
	v_fma_f64 v[9:10], v[15:16], v[37:38], v[9:10]
	s_waitcnt vmcnt(1) lgkmcnt(0)
	v_fma_f64 v[9:10], v[33:34], v[39:40], v[9:10]
	s_waitcnt vmcnt(0)
	s_delay_alu instid0(VALU_DEP_1)
	v_fma_f64 v[9:10], v[35:36], v[41:42], v[9:10]
	s_cbranch_scc1 .LBB33_16
	s_branch .LBB33_11
.LBB33_17:                              ;   in Loop: Header=BB33_9 Depth=1
	s_or_b32 exec_lo, exec_lo, s18
.LBB33_18:                              ;   in Loop: Header=BB33_9 Depth=1
	s_delay_alu instid0(SALU_CYCLE_1) | instskip(NEXT) | instid1(SALU_CYCLE_1)
	s_or_b32 exec_lo, exec_lo, s16
	s_mov_b32 s2, exec_lo
	v_cmpx_gt_i32_e64 s22, v7
	s_cbranch_execz .LBB33_8
; %bb.19:                               ;   in Loop: Header=BB33_9 Depth=1
	s_and_saveexec_b32 s16, s0
	s_delay_alu instid0(SALU_CYCLE_1)
	s_xor_b32 s16, exec_lo, s16
	s_cbranch_execz .LBB33_24
; %bb.20:                               ;   in Loop: Header=BB33_9 Depth=1
	s_and_b32 vcc_lo, exec_lo, s3
	s_mov_b32 s18, -1
	s_cbranch_vccz .LBB33_22
; %bb.21:                               ;   in Loop: Header=BB33_9 Depth=1
	v_lshlrev_b64 v[11:12], 3, v[7:8]
	s_delay_alu instid0(VALU_DEP_4) | instskip(SKIP_1) | instid1(VALU_DEP_2)
	v_mul_f64 v[15:16], v[1:2], v[9:10]
	s_mov_b32 s18, 0
	v_add_co_u32 v11, vcc_lo, v26, v11
	s_delay_alu instid0(VALU_DEP_3)
	v_add_co_ci_u32_e32 v12, vcc_lo, v27, v12, vcc_lo
	global_load_b64 v[13:14], v[11:12], off
	s_waitcnt vmcnt(0)
	v_fma_f64 v[13:14], v[3:4], v[13:14], v[15:16]
	global_store_b64 v[11:12], v[13:14], off
.LBB33_22:                              ;   in Loop: Header=BB33_9 Depth=1
	s_and_not1_b32 vcc_lo, exec_lo, s18
	s_cbranch_vccnz .LBB33_24
; %bb.23:                               ;   in Loop: Header=BB33_9 Depth=1
	v_mul_lo_u32 v5, v8, s14
	v_mul_lo_u32 v8, v7, s15
	v_mad_u64_u32 v[11:12], null, v7, s14, 0
	v_mul_f64 v[9:10], v[1:2], v[9:10]
	s_delay_alu instid0(VALU_DEP_2) | instskip(NEXT) | instid1(VALU_DEP_1)
	v_add3_u32 v12, v12, v8, v5
	v_lshlrev_b64 v[7:8], 3, v[11:12]
	s_delay_alu instid0(VALU_DEP_1) | instskip(NEXT) | instid1(VALU_DEP_2)
	v_add_co_u32 v7, vcc_lo, v24, v7
	v_add_co_ci_u32_e32 v8, vcc_lo, v25, v8, vcc_lo
	global_load_b64 v[11:12], v[7:8], off
	s_waitcnt vmcnt(0)
	v_fma_f64 v[9:10], v[3:4], v[11:12], v[9:10]
	global_store_b64 v[7:8], v[9:10], off
                                        ; implicit-def: $vgpr9_vgpr10
                                        ; implicit-def: $vgpr7
.LBB33_24:                              ;   in Loop: Header=BB33_9 Depth=1
	s_and_not1_saveexec_b32 s16, s16
	s_cbranch_execz .LBB33_8
; %bb.25:                               ;   in Loop: Header=BB33_9 Depth=1
	s_delay_alu instid0(VALU_DEP_3)
	v_mul_f64 v[9:10], v[1:2], v[9:10]
	s_and_b32 vcc_lo, exec_lo, s3
	s_mov_b32 s16, -1
	s_cbranch_vccz .LBB33_27
; %bb.26:                               ;   in Loop: Header=BB33_9 Depth=1
	v_lshlrev_b64 v[11:12], 3, v[7:8]
	s_mov_b32 s16, 0
	s_delay_alu instid0(VALU_DEP_1) | instskip(NEXT) | instid1(VALU_DEP_2)
	v_add_co_u32 v11, vcc_lo, v26, v11
	v_add_co_ci_u32_e32 v12, vcc_lo, v27, v12, vcc_lo
	global_store_b64 v[11:12], v[9:10], off
.LBB33_27:                              ;   in Loop: Header=BB33_9 Depth=1
	s_and_not1_b32 vcc_lo, exec_lo, s16
	s_cbranch_vccnz .LBB33_8
; %bb.28:                               ;   in Loop: Header=BB33_9 Depth=1
	v_mul_lo_u32 v5, v8, s14
	v_mul_lo_u32 v8, v7, s15
	v_mad_u64_u32 v[11:12], null, v7, s14, 0
	s_delay_alu instid0(VALU_DEP_1) | instskip(NEXT) | instid1(VALU_DEP_1)
	v_add3_u32 v12, v12, v8, v5
	v_lshlrev_b64 v[7:8], 3, v[11:12]
	s_delay_alu instid0(VALU_DEP_1) | instskip(NEXT) | instid1(VALU_DEP_2)
	v_add_co_u32 v7, vcc_lo, v24, v7
	v_add_co_ci_u32_e32 v8, vcc_lo, v25, v8, vcc_lo
	global_store_b64 v[7:8], v[9:10], off
	s_branch .LBB33_8
.LBB33_29:
	s_nop 0
	s_sendmsg sendmsg(MSG_DEALLOC_VGPRS)
	s_endpgm
	.section	.rodata,"a",@progbits
	.p2align	6, 0x0
	.amdhsa_kernel _ZN9rocsparseL29bsrmmnt_small_blockdim_kernelILj64ELj8ELj2EiiddddEEv20rocsparse_direction_T3_S2_llNS_24const_host_device_scalarIT7_EEPKT2_PKS2_PKT4_PKT5_llS5_PT6_ll16rocsparse_order_21rocsparse_index_base_b
		.amdhsa_group_segment_fixed_size 1792
		.amdhsa_private_segment_fixed_size 0
		.amdhsa_kernarg_size 392
		.amdhsa_user_sgpr_count 15
		.amdhsa_user_sgpr_dispatch_ptr 0
		.amdhsa_user_sgpr_queue_ptr 0
		.amdhsa_user_sgpr_kernarg_segment_ptr 1
		.amdhsa_user_sgpr_dispatch_id 0
		.amdhsa_user_sgpr_private_segment_size 0
		.amdhsa_wavefront_size32 1
		.amdhsa_uses_dynamic_stack 0
		.amdhsa_enable_private_segment 0
		.amdhsa_system_sgpr_workgroup_id_x 1
		.amdhsa_system_sgpr_workgroup_id_y 0
		.amdhsa_system_sgpr_workgroup_id_z 0
		.amdhsa_system_sgpr_workgroup_info 0
		.amdhsa_system_vgpr_workitem_id 0
		.amdhsa_next_free_vgpr 43
		.amdhsa_next_free_sgpr 24
		.amdhsa_reserve_vcc 1
		.amdhsa_float_round_mode_32 0
		.amdhsa_float_round_mode_16_64 0
		.amdhsa_float_denorm_mode_32 3
		.amdhsa_float_denorm_mode_16_64 3
		.amdhsa_dx10_clamp 1
		.amdhsa_ieee_mode 1
		.amdhsa_fp16_overflow 0
		.amdhsa_workgroup_processor_mode 1
		.amdhsa_memory_ordered 1
		.amdhsa_forward_progress 0
		.amdhsa_shared_vgpr_count 0
		.amdhsa_exception_fp_ieee_invalid_op 0
		.amdhsa_exception_fp_denorm_src 0
		.amdhsa_exception_fp_ieee_div_zero 0
		.amdhsa_exception_fp_ieee_overflow 0
		.amdhsa_exception_fp_ieee_underflow 0
		.amdhsa_exception_fp_ieee_inexact 0
		.amdhsa_exception_int_div_zero 0
	.end_amdhsa_kernel
	.section	.text._ZN9rocsparseL29bsrmmnt_small_blockdim_kernelILj64ELj8ELj2EiiddddEEv20rocsparse_direction_T3_S2_llNS_24const_host_device_scalarIT7_EEPKT2_PKS2_PKT4_PKT5_llS5_PT6_ll16rocsparse_order_21rocsparse_index_base_b,"axG",@progbits,_ZN9rocsparseL29bsrmmnt_small_blockdim_kernelILj64ELj8ELj2EiiddddEEv20rocsparse_direction_T3_S2_llNS_24const_host_device_scalarIT7_EEPKT2_PKS2_PKT4_PKT5_llS5_PT6_ll16rocsparse_order_21rocsparse_index_base_b,comdat
.Lfunc_end33:
	.size	_ZN9rocsparseL29bsrmmnt_small_blockdim_kernelILj64ELj8ELj2EiiddddEEv20rocsparse_direction_T3_S2_llNS_24const_host_device_scalarIT7_EEPKT2_PKS2_PKT4_PKT5_llS5_PT6_ll16rocsparse_order_21rocsparse_index_base_b, .Lfunc_end33-_ZN9rocsparseL29bsrmmnt_small_blockdim_kernelILj64ELj8ELj2EiiddddEEv20rocsparse_direction_T3_S2_llNS_24const_host_device_scalarIT7_EEPKT2_PKS2_PKT4_PKT5_llS5_PT6_ll16rocsparse_order_21rocsparse_index_base_b
                                        ; -- End function
	.section	.AMDGPU.csdata,"",@progbits
; Kernel info:
; codeLenInByte = 1708
; NumSgprs: 26
; NumVgprs: 43
; ScratchSize: 0
; MemoryBound: 0
; FloatMode: 240
; IeeeMode: 1
; LDSByteSize: 1792 bytes/workgroup (compile time only)
; SGPRBlocks: 3
; VGPRBlocks: 5
; NumSGPRsForWavesPerEU: 26
; NumVGPRsForWavesPerEU: 43
; Occupancy: 16
; WaveLimiterHint : 1
; COMPUTE_PGM_RSRC2:SCRATCH_EN: 0
; COMPUTE_PGM_RSRC2:USER_SGPR: 15
; COMPUTE_PGM_RSRC2:TRAP_HANDLER: 0
; COMPUTE_PGM_RSRC2:TGID_X_EN: 1
; COMPUTE_PGM_RSRC2:TGID_Y_EN: 0
; COMPUTE_PGM_RSRC2:TGID_Z_EN: 0
; COMPUTE_PGM_RSRC2:TIDIG_COMP_CNT: 0
	.section	.text._ZN9rocsparseL29bsrmmnt_small_blockdim_kernelILj64ELj16ELj2EiiddddEEv20rocsparse_direction_T3_S2_llNS_24const_host_device_scalarIT7_EEPKT2_PKS2_PKT4_PKT5_llS5_PT6_ll16rocsparse_order_21rocsparse_index_base_b,"axG",@progbits,_ZN9rocsparseL29bsrmmnt_small_blockdim_kernelILj64ELj16ELj2EiiddddEEv20rocsparse_direction_T3_S2_llNS_24const_host_device_scalarIT7_EEPKT2_PKS2_PKT4_PKT5_llS5_PT6_ll16rocsparse_order_21rocsparse_index_base_b,comdat
	.globl	_ZN9rocsparseL29bsrmmnt_small_blockdim_kernelILj64ELj16ELj2EiiddddEEv20rocsparse_direction_T3_S2_llNS_24const_host_device_scalarIT7_EEPKT2_PKS2_PKT4_PKT5_llS5_PT6_ll16rocsparse_order_21rocsparse_index_base_b ; -- Begin function _ZN9rocsparseL29bsrmmnt_small_blockdim_kernelILj64ELj16ELj2EiiddddEEv20rocsparse_direction_T3_S2_llNS_24const_host_device_scalarIT7_EEPKT2_PKS2_PKT4_PKT5_llS5_PT6_ll16rocsparse_order_21rocsparse_index_base_b
	.p2align	8
	.type	_ZN9rocsparseL29bsrmmnt_small_blockdim_kernelILj64ELj16ELj2EiiddddEEv20rocsparse_direction_T3_S2_llNS_24const_host_device_scalarIT7_EEPKT2_PKS2_PKT4_PKT5_llS5_PT6_ll16rocsparse_order_21rocsparse_index_base_b,@function
_ZN9rocsparseL29bsrmmnt_small_blockdim_kernelILj64ELj16ELj2EiiddddEEv20rocsparse_direction_T3_S2_llNS_24const_host_device_scalarIT7_EEPKT2_PKS2_PKT4_PKT5_llS5_PT6_ll16rocsparse_order_21rocsparse_index_base_b: ; @_ZN9rocsparseL29bsrmmnt_small_blockdim_kernelILj64ELj16ELj2EiiddddEEv20rocsparse_direction_T3_S2_llNS_24const_host_device_scalarIT7_EEPKT2_PKS2_PKT4_PKT5_llS5_PT6_ll16rocsparse_order_21rocsparse_index_base_b
; %bb.0:
	s_clause 0x2
	s_load_b128 s[16:19], s[0:1], 0x78
	s_load_b64 s[4:5], s[0:1], 0x20
	s_load_b64 s[2:3], s[0:1], 0x58
	s_waitcnt lgkmcnt(0)
	s_bitcmp1_b32 s18, 0
	v_dual_mov_b32 v1, s4 :: v_dual_mov_b32 v2, s5
	s_cselect_b32 s6, -1, 0
	s_delay_alu instid0(SALU_CYCLE_1)
	s_and_b32 vcc_lo, exec_lo, s6
	s_xor_b32 s6, s6, -1
	s_cbranch_vccnz .LBB34_2
; %bb.1:
	v_dual_mov_b32 v1, s4 :: v_dual_mov_b32 v2, s5
	flat_load_b64 v[1:2], v[1:2]
.LBB34_2:
	v_dual_mov_b32 v4, s3 :: v_dual_mov_b32 v3, s2
	s_and_not1_b32 vcc_lo, exec_lo, s6
	s_cbranch_vccnz .LBB34_4
; %bb.3:
	v_dual_mov_b32 v4, s3 :: v_dual_mov_b32 v3, s2
	flat_load_b64 v[3:4], v[3:4]
.LBB34_4:
	s_waitcnt vmcnt(0) lgkmcnt(0)
	v_cmp_neq_f64_e32 vcc_lo, 0, v[1:2]
	v_cmp_neq_f64_e64 s2, 1.0, v[3:4]
	s_delay_alu instid0(VALU_DEP_1) | instskip(NEXT) | instid1(SALU_CYCLE_1)
	s_or_b32 s2, vcc_lo, s2
	s_and_saveexec_b32 s3, s2
	s_cbranch_execz .LBB34_29
; %bb.5:
	s_clause 0x1
	s_load_b32 s2, s[0:1], 0x94
	s_load_b128 s[20:23], s[0:1], 0x0
	s_waitcnt lgkmcnt(0)
	s_and_b32 s2, s2, 0xffff
	s_delay_alu instid0(SALU_CYCLE_1) | instskip(NEXT) | instid1(VALU_DEP_1)
	v_mad_u64_u32 v[5:6], null, s15, s2, v[0:1]
	v_lshrrev_b32_e32 v6, 5, v5
	s_delay_alu instid0(VALU_DEP_1)
	v_cmp_gt_i32_e32 vcc_lo, s21, v6
	s_and_b32 exec_lo, exec_lo, vcc_lo
	s_cbranch_execz .LBB34_29
; %bb.6:
	s_cmp_lt_i32 s22, 1
	s_cbranch_scc1 .LBB34_29
; %bb.7:
	s_load_b256 s[4:11], s[0:1], 0x28
	v_lshlrev_b32_e32 v6, 2, v6
	s_load_b128 s[12:15], s[0:1], 0x60
	v_lshrrev_b32_e32 v11, 4, v5
	v_bfe_u32 v12, v5, 4, 1
	v_and_b32_e32 v19, 15, v0
	s_cmp_lg_u32 s16, 1
	v_lshrrev_b32_e32 v13, 4, v0
	s_cselect_b32 s3, -1, 0
	s_cmp_eq_u32 s20, 0
	s_cselect_b32 s2, -1, 0
	s_delay_alu instid0(VALU_DEP_1)
	v_lshl_or_b32 v0, v13, 6, 0x600
	v_mul_u32_u24_e32 v20, 0x180, v13
	s_waitcnt lgkmcnt(0)
	global_load_b64 v[6:7], v6, s[4:5]
	s_load_b64 s[4:5], s[0:1], 0x48
	v_cmp_neq_f64_e64 s0, 0, v[3:4]
	v_mad_u64_u32 v[8:9], null, v11, s14, 0
	s_delay_alu instid0(VALU_DEP_1) | instskip(SKIP_1) | instid1(VALU_DEP_1)
	v_mov_b32_e32 v5, v9
	s_waitcnt vmcnt(0)
	v_mad_u64_u32 v[9:10], null, v11, s15, v[5:6]
	v_lshlrev_b32_e32 v11, 3, v11
	v_subrev_nc_u32_e32 v28, s17, v6
	v_cndmask_b32_e64 v10, 0, 1, s2
	v_subrev_nc_u32_e32 v29, s17, v7
	s_and_b32 s2, s2, exec_lo
	v_add_co_u32 v24, s1, s12, v11
	s_delay_alu instid0(VALU_DEP_1)
	v_add_co_ci_u32_e64 v25, null, s13, 0, s1
	v_cmp_lt_i32_e64 s1, v6, v7
	v_mov_b32_e32 v6, 0
	v_mul_u32_u24_e32 v5, 3, v19
	v_lshlrev_b64 v[8:9], 3, v[8:9]
	v_lshlrev_b32_e32 v21, v10, v12
	v_lshl_or_b32 v22, v19, 2, v0
	s_delay_alu instid0(VALU_DEP_4) | instskip(NEXT) | instid1(VALU_DEP_4)
	v_lshlrev_b32_e32 v5, 3, v5
	v_add_co_u32 v26, vcc_lo, s12, v8
	v_add_co_ci_u32_e32 v27, vcc_lo, s13, v9, vcc_lo
	s_delay_alu instid0(VALU_DEP_3)
	v_mad_u32_u24 v23, 0x180, v13, v5
	s_mov_b32 s12, 0
	s_cselect_b32 s13, 1, 2
	s_branch .LBB34_9
.LBB34_8:                               ;   in Loop: Header=BB34_9 Depth=1
	s_or_b32 exec_lo, exec_lo, s2
	s_add_i32 s12, s12, 16
	s_delay_alu instid0(SALU_CYCLE_1)
	s_cmp_lt_i32 s12, s22
	s_cbranch_scc0 .LBB34_29
.LBB34_9:                               ; =>This Loop Header: Depth=1
                                        ;     Child Loop BB34_12 Depth 2
                                        ;       Child Loop BB34_16 Depth 3
	v_or_b32_e32 v7, s12, v19
	v_mov_b32_e32 v9, 0
	v_mov_b32_e32 v10, 0
	s_delay_alu instid0(VALU_DEP_3)
	v_ashrrev_i32_e32 v8, 31, v7
	s_and_saveexec_b32 s16, s1
	s_cbranch_execz .LBB34_18
; %bb.10:                               ;   in Loop: Header=BB34_9 Depth=1
	s_delay_alu instid0(VALU_DEP_1) | instskip(SKIP_4) | instid1(VALU_DEP_4)
	v_lshlrev_b64 v[9:10], 3, v[7:8]
	v_dual_mov_b32 v11, 0 :: v_dual_mov_b32 v32, v28
	v_mov_b32_e32 v12, 0
	v_cmp_gt_i32_e32 vcc_lo, s22, v7
	s_mov_b32 s18, 0
	v_add_co_u32 v30, s2, s10, v9
	s_delay_alu instid0(VALU_DEP_1)
	v_add_co_ci_u32_e64 v31, s2, s11, v10, s2
	v_dual_mov_b32 v9, v11 :: v_dual_mov_b32 v10, v12
	s_branch .LBB34_12
.LBB34_11:                              ;   in Loop: Header=BB34_12 Depth=2
	s_or_b32 exec_lo, exec_lo, s19
	v_add_nc_u32_e32 v32, 16, v32
	s_delay_alu instid0(VALU_DEP_1) | instskip(NEXT) | instid1(VALU_DEP_1)
	v_cmp_ge_i32_e64 s2, v32, v29
	s_or_b32 s18, s2, s18
	s_delay_alu instid0(SALU_CYCLE_1)
	s_and_not1_b32 exec_lo, exec_lo, s18
	s_cbranch_execz .LBB34_17
.LBB34_12:                              ;   Parent Loop BB34_9 Depth=1
                                        ; =>  This Loop Header: Depth=2
                                        ;       Child Loop BB34_16 Depth 3
	v_dual_mov_b32 v5, 0 :: v_dual_mov_b32 v14, v12
	v_dual_mov_b32 v13, v11 :: v_dual_mov_b32 v16, v12
	v_add_nc_u32_e32 v17, v32, v19
	v_mov_b32_e32 v15, v11
	s_mov_b32 s19, exec_lo
	s_delay_alu instid0(VALU_DEP_2)
	v_cmpx_lt_i32_e64 v17, v29
	s_cbranch_execz .LBB34_14
; %bb.13:                               ;   in Loop: Header=BB34_12 Depth=2
	v_ashrrev_i32_e32 v18, 31, v17
	v_lshl_or_b32 v5, v17, 2, v21
	s_delay_alu instid0(VALU_DEP_2) | instskip(NEXT) | instid1(VALU_DEP_2)
	v_lshlrev_b64 v[13:14], 2, v[17:18]
	v_lshlrev_b64 v[15:16], 3, v[5:6]
	v_or_b32_e32 v5, s13, v5
	s_delay_alu instid0(VALU_DEP_3) | instskip(NEXT) | instid1(VALU_DEP_1)
	v_add_co_u32 v13, s2, s6, v13
	v_add_co_ci_u32_e64 v14, s2, s7, v14, s2
	s_delay_alu instid0(VALU_DEP_3) | instskip(SKIP_2) | instid1(VALU_DEP_1)
	v_lshlrev_b64 v[17:18], 3, v[5:6]
	global_load_b32 v5, v[13:14], off
	v_add_co_u32 v13, s2, s8, v15
	v_add_co_ci_u32_e64 v14, s2, s9, v16, s2
	v_add_co_u32 v15, s2, s8, v17
	s_delay_alu instid0(VALU_DEP_1)
	v_add_co_ci_u32_e64 v16, s2, s9, v18, s2
	s_clause 0x1
	global_load_b64 v[13:14], v[13:14], off
	global_load_b64 v[15:16], v[15:16], off
	s_waitcnt vmcnt(2)
	v_subrev_nc_u32_e32 v5, s17, v5
	s_delay_alu instid0(VALU_DEP_1)
	v_lshlrev_b32_e32 v5, 1, v5
.LBB34_14:                              ;   in Loop: Header=BB34_12 Depth=2
	s_or_b32 exec_lo, exec_lo, s19
	ds_store_b32 v22, v5
	s_waitcnt vmcnt(0)
	ds_store_2addr_b64 v23, v[13:14], v[15:16] offset1:1
	s_waitcnt lgkmcnt(0)
	s_waitcnt_vscnt null, 0x0
	s_barrier
	buffer_gl0_inv
	s_and_saveexec_b32 s19, vcc_lo
	s_cbranch_execz .LBB34_11
; %bb.15:                               ;   in Loop: Header=BB34_12 Depth=2
	v_mov_b32_e32 v5, v20
	s_mov_b32 s20, 0
.LBB34_16:                              ;   Parent Loop BB34_9 Depth=1
                                        ;     Parent Loop BB34_12 Depth=2
                                        ; =>    This Inner Loop Header: Depth=3
	s_delay_alu instid0(SALU_CYCLE_1) | instskip(SKIP_1) | instid1(SALU_CYCLE_1)
	v_add_nc_u32_e32 v13, s20, v0
	s_add_i32 s20, s20, 8
	s_cmp_lg_u32 s20, 64
	ds_load_b64 v[13:14], v13
	s_waitcnt lgkmcnt(0)
	v_ashrrev_i32_e32 v17, 31, v13
	v_mul_lo_u32 v18, v13, s5
	v_mad_u64_u32 v[15:16], null, v13, s4, 0
	v_add_nc_u32_e32 v13, 1, v13
	s_delay_alu instid0(VALU_DEP_4) | instskip(NEXT) | instid1(VALU_DEP_2)
	v_mul_lo_u32 v17, v17, s4
	v_ashrrev_i32_e32 v33, 31, v13
	v_mul_lo_u32 v34, v13, s5
	s_delay_alu instid0(VALU_DEP_3) | instskip(NEXT) | instid1(VALU_DEP_1)
	v_add3_u32 v16, v16, v18, v17
	v_lshlrev_b64 v[15:16], 3, v[15:16]
	s_delay_alu instid0(VALU_DEP_1) | instskip(NEXT) | instid1(VALU_DEP_1)
	v_add_co_u32 v15, s2, v30, v15
	v_add_co_ci_u32_e64 v16, s2, v31, v16, s2
	global_load_b64 v[17:18], v[15:16], off
	v_mad_u64_u32 v[15:16], null, v13, s4, 0
	v_mul_lo_u32 v13, v33, s4
	v_mul_lo_u32 v33, v14, s5
	s_delay_alu instid0(VALU_DEP_2) | instskip(SKIP_1) | instid1(VALU_DEP_2)
	v_add3_u32 v16, v16, v34, v13
	v_ashrrev_i32_e32 v13, 31, v14
	v_lshlrev_b64 v[15:16], 3, v[15:16]
	s_delay_alu instid0(VALU_DEP_2) | instskip(NEXT) | instid1(VALU_DEP_2)
	v_mul_lo_u32 v13, v13, s4
	v_add_co_u32 v15, s2, v30, v15
	s_delay_alu instid0(VALU_DEP_1) | instskip(SKIP_2) | instid1(VALU_DEP_1)
	v_add_co_ci_u32_e64 v16, s2, v31, v16, s2
	global_load_b64 v[37:38], v[15:16], off
	v_mad_u64_u32 v[15:16], null, v14, s4, 0
	v_add3_u32 v16, v16, v33, v13
	s_delay_alu instid0(VALU_DEP_1) | instskip(NEXT) | instid1(VALU_DEP_1)
	v_lshlrev_b64 v[15:16], 3, v[15:16]
	v_add_co_u32 v15, s2, v30, v15
	s_delay_alu instid0(VALU_DEP_1) | instskip(SKIP_2) | instid1(VALU_DEP_1)
	v_add_co_ci_u32_e64 v16, s2, v31, v16, s2
	global_load_b64 v[39:40], v[15:16], off
	v_add_nc_u32_e32 v15, 1, v14
	v_ashrrev_i32_e32 v16, 31, v15
	v_mul_lo_u32 v33, v15, s5
	v_mad_u64_u32 v[13:14], null, v15, s4, 0
	s_delay_alu instid0(VALU_DEP_3) | instskip(NEXT) | instid1(VALU_DEP_1)
	v_mul_lo_u32 v15, v16, s4
	v_add3_u32 v14, v14, v33, v15
	s_delay_alu instid0(VALU_DEP_1) | instskip(NEXT) | instid1(VALU_DEP_1)
	v_lshlrev_b64 v[13:14], 3, v[13:14]
	v_add_co_u32 v13, s2, v30, v13
	s_delay_alu instid0(VALU_DEP_1)
	v_add_co_ci_u32_e64 v14, s2, v31, v14, s2
	global_load_b64 v[41:42], v[13:14], off
	ds_load_b128 v[13:16], v5
	ds_load_2addr_b64 v[33:36], v5 offset0:3 offset1:4
	v_add_nc_u32_e32 v5, 48, v5
	s_waitcnt vmcnt(3) lgkmcnt(1)
	v_fma_f64 v[9:10], v[13:14], v[17:18], v[9:10]
	s_waitcnt vmcnt(2)
	s_delay_alu instid0(VALU_DEP_1) | instskip(SKIP_1) | instid1(VALU_DEP_1)
	v_fma_f64 v[9:10], v[15:16], v[37:38], v[9:10]
	s_waitcnt vmcnt(1) lgkmcnt(0)
	v_fma_f64 v[9:10], v[33:34], v[39:40], v[9:10]
	s_waitcnt vmcnt(0)
	s_delay_alu instid0(VALU_DEP_1)
	v_fma_f64 v[9:10], v[35:36], v[41:42], v[9:10]
	s_cbranch_scc1 .LBB34_16
	s_branch .LBB34_11
.LBB34_17:                              ;   in Loop: Header=BB34_9 Depth=1
	s_or_b32 exec_lo, exec_lo, s18
.LBB34_18:                              ;   in Loop: Header=BB34_9 Depth=1
	s_delay_alu instid0(SALU_CYCLE_1) | instskip(NEXT) | instid1(SALU_CYCLE_1)
	s_or_b32 exec_lo, exec_lo, s16
	s_mov_b32 s2, exec_lo
	v_cmpx_gt_i32_e64 s22, v7
	s_cbranch_execz .LBB34_8
; %bb.19:                               ;   in Loop: Header=BB34_9 Depth=1
	s_and_saveexec_b32 s16, s0
	s_delay_alu instid0(SALU_CYCLE_1)
	s_xor_b32 s16, exec_lo, s16
	s_cbranch_execz .LBB34_24
; %bb.20:                               ;   in Loop: Header=BB34_9 Depth=1
	s_and_b32 vcc_lo, exec_lo, s3
	s_mov_b32 s18, -1
	s_cbranch_vccz .LBB34_22
; %bb.21:                               ;   in Loop: Header=BB34_9 Depth=1
	v_lshlrev_b64 v[11:12], 3, v[7:8]
	s_delay_alu instid0(VALU_DEP_4) | instskip(SKIP_1) | instid1(VALU_DEP_2)
	v_mul_f64 v[15:16], v[1:2], v[9:10]
	s_mov_b32 s18, 0
	v_add_co_u32 v11, vcc_lo, v26, v11
	s_delay_alu instid0(VALU_DEP_3)
	v_add_co_ci_u32_e32 v12, vcc_lo, v27, v12, vcc_lo
	global_load_b64 v[13:14], v[11:12], off
	s_waitcnt vmcnt(0)
	v_fma_f64 v[13:14], v[3:4], v[13:14], v[15:16]
	global_store_b64 v[11:12], v[13:14], off
.LBB34_22:                              ;   in Loop: Header=BB34_9 Depth=1
	s_and_not1_b32 vcc_lo, exec_lo, s18
	s_cbranch_vccnz .LBB34_24
; %bb.23:                               ;   in Loop: Header=BB34_9 Depth=1
	v_mul_lo_u32 v5, v8, s14
	v_mul_lo_u32 v8, v7, s15
	v_mad_u64_u32 v[11:12], null, v7, s14, 0
	v_mul_f64 v[9:10], v[1:2], v[9:10]
	s_delay_alu instid0(VALU_DEP_2) | instskip(NEXT) | instid1(VALU_DEP_1)
	v_add3_u32 v12, v12, v8, v5
	v_lshlrev_b64 v[7:8], 3, v[11:12]
	s_delay_alu instid0(VALU_DEP_1) | instskip(NEXT) | instid1(VALU_DEP_2)
	v_add_co_u32 v7, vcc_lo, v24, v7
	v_add_co_ci_u32_e32 v8, vcc_lo, v25, v8, vcc_lo
	global_load_b64 v[11:12], v[7:8], off
	s_waitcnt vmcnt(0)
	v_fma_f64 v[9:10], v[3:4], v[11:12], v[9:10]
	global_store_b64 v[7:8], v[9:10], off
                                        ; implicit-def: $vgpr9_vgpr10
                                        ; implicit-def: $vgpr7
.LBB34_24:                              ;   in Loop: Header=BB34_9 Depth=1
	s_and_not1_saveexec_b32 s16, s16
	s_cbranch_execz .LBB34_8
; %bb.25:                               ;   in Loop: Header=BB34_9 Depth=1
	s_delay_alu instid0(VALU_DEP_3)
	v_mul_f64 v[9:10], v[1:2], v[9:10]
	s_and_b32 vcc_lo, exec_lo, s3
	s_mov_b32 s16, -1
	s_cbranch_vccz .LBB34_27
; %bb.26:                               ;   in Loop: Header=BB34_9 Depth=1
	v_lshlrev_b64 v[11:12], 3, v[7:8]
	s_mov_b32 s16, 0
	s_delay_alu instid0(VALU_DEP_1) | instskip(NEXT) | instid1(VALU_DEP_2)
	v_add_co_u32 v11, vcc_lo, v26, v11
	v_add_co_ci_u32_e32 v12, vcc_lo, v27, v12, vcc_lo
	global_store_b64 v[11:12], v[9:10], off
.LBB34_27:                              ;   in Loop: Header=BB34_9 Depth=1
	s_and_not1_b32 vcc_lo, exec_lo, s16
	s_cbranch_vccnz .LBB34_8
; %bb.28:                               ;   in Loop: Header=BB34_9 Depth=1
	v_mul_lo_u32 v5, v8, s14
	v_mul_lo_u32 v8, v7, s15
	v_mad_u64_u32 v[11:12], null, v7, s14, 0
	s_delay_alu instid0(VALU_DEP_1) | instskip(NEXT) | instid1(VALU_DEP_1)
	v_add3_u32 v12, v12, v8, v5
	v_lshlrev_b64 v[7:8], 3, v[11:12]
	s_delay_alu instid0(VALU_DEP_1) | instskip(NEXT) | instid1(VALU_DEP_2)
	v_add_co_u32 v7, vcc_lo, v24, v7
	v_add_co_ci_u32_e32 v8, vcc_lo, v25, v8, vcc_lo
	global_store_b64 v[7:8], v[9:10], off
	s_branch .LBB34_8
.LBB34_29:
	s_nop 0
	s_sendmsg sendmsg(MSG_DEALLOC_VGPRS)
	s_endpgm
	.section	.rodata,"a",@progbits
	.p2align	6, 0x0
	.amdhsa_kernel _ZN9rocsparseL29bsrmmnt_small_blockdim_kernelILj64ELj16ELj2EiiddddEEv20rocsparse_direction_T3_S2_llNS_24const_host_device_scalarIT7_EEPKT2_PKS2_PKT4_PKT5_llS5_PT6_ll16rocsparse_order_21rocsparse_index_base_b
		.amdhsa_group_segment_fixed_size 1792
		.amdhsa_private_segment_fixed_size 0
		.amdhsa_kernarg_size 392
		.amdhsa_user_sgpr_count 15
		.amdhsa_user_sgpr_dispatch_ptr 0
		.amdhsa_user_sgpr_queue_ptr 0
		.amdhsa_user_sgpr_kernarg_segment_ptr 1
		.amdhsa_user_sgpr_dispatch_id 0
		.amdhsa_user_sgpr_private_segment_size 0
		.amdhsa_wavefront_size32 1
		.amdhsa_uses_dynamic_stack 0
		.amdhsa_enable_private_segment 0
		.amdhsa_system_sgpr_workgroup_id_x 1
		.amdhsa_system_sgpr_workgroup_id_y 0
		.amdhsa_system_sgpr_workgroup_id_z 0
		.amdhsa_system_sgpr_workgroup_info 0
		.amdhsa_system_vgpr_workitem_id 0
		.amdhsa_next_free_vgpr 43
		.amdhsa_next_free_sgpr 24
		.amdhsa_reserve_vcc 1
		.amdhsa_float_round_mode_32 0
		.amdhsa_float_round_mode_16_64 0
		.amdhsa_float_denorm_mode_32 3
		.amdhsa_float_denorm_mode_16_64 3
		.amdhsa_dx10_clamp 1
		.amdhsa_ieee_mode 1
		.amdhsa_fp16_overflow 0
		.amdhsa_workgroup_processor_mode 1
		.amdhsa_memory_ordered 1
		.amdhsa_forward_progress 0
		.amdhsa_shared_vgpr_count 0
		.amdhsa_exception_fp_ieee_invalid_op 0
		.amdhsa_exception_fp_denorm_src 0
		.amdhsa_exception_fp_ieee_div_zero 0
		.amdhsa_exception_fp_ieee_overflow 0
		.amdhsa_exception_fp_ieee_underflow 0
		.amdhsa_exception_fp_ieee_inexact 0
		.amdhsa_exception_int_div_zero 0
	.end_amdhsa_kernel
	.section	.text._ZN9rocsparseL29bsrmmnt_small_blockdim_kernelILj64ELj16ELj2EiiddddEEv20rocsparse_direction_T3_S2_llNS_24const_host_device_scalarIT7_EEPKT2_PKS2_PKT4_PKT5_llS5_PT6_ll16rocsparse_order_21rocsparse_index_base_b,"axG",@progbits,_ZN9rocsparseL29bsrmmnt_small_blockdim_kernelILj64ELj16ELj2EiiddddEEv20rocsparse_direction_T3_S2_llNS_24const_host_device_scalarIT7_EEPKT2_PKS2_PKT4_PKT5_llS5_PT6_ll16rocsparse_order_21rocsparse_index_base_b,comdat
.Lfunc_end34:
	.size	_ZN9rocsparseL29bsrmmnt_small_blockdim_kernelILj64ELj16ELj2EiiddddEEv20rocsparse_direction_T3_S2_llNS_24const_host_device_scalarIT7_EEPKT2_PKS2_PKT4_PKT5_llS5_PT6_ll16rocsparse_order_21rocsparse_index_base_b, .Lfunc_end34-_ZN9rocsparseL29bsrmmnt_small_blockdim_kernelILj64ELj16ELj2EiiddddEEv20rocsparse_direction_T3_S2_llNS_24const_host_device_scalarIT7_EEPKT2_PKS2_PKT4_PKT5_llS5_PT6_ll16rocsparse_order_21rocsparse_index_base_b
                                        ; -- End function
	.section	.AMDGPU.csdata,"",@progbits
; Kernel info:
; codeLenInByte = 1704
; NumSgprs: 26
; NumVgprs: 43
; ScratchSize: 0
; MemoryBound: 0
; FloatMode: 240
; IeeeMode: 1
; LDSByteSize: 1792 bytes/workgroup (compile time only)
; SGPRBlocks: 3
; VGPRBlocks: 5
; NumSGPRsForWavesPerEU: 26
; NumVGPRsForWavesPerEU: 43
; Occupancy: 16
; WaveLimiterHint : 1
; COMPUTE_PGM_RSRC2:SCRATCH_EN: 0
; COMPUTE_PGM_RSRC2:USER_SGPR: 15
; COMPUTE_PGM_RSRC2:TRAP_HANDLER: 0
; COMPUTE_PGM_RSRC2:TGID_X_EN: 1
; COMPUTE_PGM_RSRC2:TGID_Y_EN: 0
; COMPUTE_PGM_RSRC2:TGID_Z_EN: 0
; COMPUTE_PGM_RSRC2:TIDIG_COMP_CNT: 0
	.section	.text._ZN9rocsparseL29bsrmmnt_small_blockdim_kernelILj64ELj32ELj2EiiddddEEv20rocsparse_direction_T3_S2_llNS_24const_host_device_scalarIT7_EEPKT2_PKS2_PKT4_PKT5_llS5_PT6_ll16rocsparse_order_21rocsparse_index_base_b,"axG",@progbits,_ZN9rocsparseL29bsrmmnt_small_blockdim_kernelILj64ELj32ELj2EiiddddEEv20rocsparse_direction_T3_S2_llNS_24const_host_device_scalarIT7_EEPKT2_PKS2_PKT4_PKT5_llS5_PT6_ll16rocsparse_order_21rocsparse_index_base_b,comdat
	.globl	_ZN9rocsparseL29bsrmmnt_small_blockdim_kernelILj64ELj32ELj2EiiddddEEv20rocsparse_direction_T3_S2_llNS_24const_host_device_scalarIT7_EEPKT2_PKS2_PKT4_PKT5_llS5_PT6_ll16rocsparse_order_21rocsparse_index_base_b ; -- Begin function _ZN9rocsparseL29bsrmmnt_small_blockdim_kernelILj64ELj32ELj2EiiddddEEv20rocsparse_direction_T3_S2_llNS_24const_host_device_scalarIT7_EEPKT2_PKS2_PKT4_PKT5_llS5_PT6_ll16rocsparse_order_21rocsparse_index_base_b
	.p2align	8
	.type	_ZN9rocsparseL29bsrmmnt_small_blockdim_kernelILj64ELj32ELj2EiiddddEEv20rocsparse_direction_T3_S2_llNS_24const_host_device_scalarIT7_EEPKT2_PKS2_PKT4_PKT5_llS5_PT6_ll16rocsparse_order_21rocsparse_index_base_b,@function
_ZN9rocsparseL29bsrmmnt_small_blockdim_kernelILj64ELj32ELj2EiiddddEEv20rocsparse_direction_T3_S2_llNS_24const_host_device_scalarIT7_EEPKT2_PKS2_PKT4_PKT5_llS5_PT6_ll16rocsparse_order_21rocsparse_index_base_b: ; @_ZN9rocsparseL29bsrmmnt_small_blockdim_kernelILj64ELj32ELj2EiiddddEEv20rocsparse_direction_T3_S2_llNS_24const_host_device_scalarIT7_EEPKT2_PKS2_PKT4_PKT5_llS5_PT6_ll16rocsparse_order_21rocsparse_index_base_b
; %bb.0:
	s_clause 0x2
	s_load_b128 s[16:19], s[0:1], 0x78
	s_load_b64 s[4:5], s[0:1], 0x20
	s_load_b64 s[2:3], s[0:1], 0x58
	s_waitcnt lgkmcnt(0)
	s_bitcmp1_b32 s18, 0
	v_dual_mov_b32 v1, s4 :: v_dual_mov_b32 v2, s5
	s_cselect_b32 s6, -1, 0
	s_delay_alu instid0(SALU_CYCLE_1)
	s_and_b32 vcc_lo, exec_lo, s6
	s_xor_b32 s6, s6, -1
	s_cbranch_vccnz .LBB35_2
; %bb.1:
	v_dual_mov_b32 v1, s4 :: v_dual_mov_b32 v2, s5
	flat_load_b64 v[1:2], v[1:2]
.LBB35_2:
	v_dual_mov_b32 v4, s3 :: v_dual_mov_b32 v3, s2
	s_and_not1_b32 vcc_lo, exec_lo, s6
	s_cbranch_vccnz .LBB35_4
; %bb.3:
	v_dual_mov_b32 v4, s3 :: v_dual_mov_b32 v3, s2
	flat_load_b64 v[3:4], v[3:4]
.LBB35_4:
	s_waitcnt vmcnt(0) lgkmcnt(0)
	v_cmp_neq_f64_e32 vcc_lo, 0, v[1:2]
	v_cmp_neq_f64_e64 s2, 1.0, v[3:4]
	s_delay_alu instid0(VALU_DEP_1) | instskip(NEXT) | instid1(SALU_CYCLE_1)
	s_or_b32 s2, vcc_lo, s2
	s_and_saveexec_b32 s3, s2
	s_cbranch_execz .LBB35_29
; %bb.5:
	s_clause 0x1
	s_load_b32 s2, s[0:1], 0x94
	s_load_b128 s[20:23], s[0:1], 0x0
	s_waitcnt lgkmcnt(0)
	s_and_b32 s2, s2, 0xffff
	s_delay_alu instid0(SALU_CYCLE_1) | instskip(NEXT) | instid1(VALU_DEP_1)
	v_mad_u64_u32 v[5:6], null, s15, s2, v[0:1]
	v_lshrrev_b32_e32 v6, 6, v5
	s_delay_alu instid0(VALU_DEP_1)
	v_cmp_gt_i32_e32 vcc_lo, s21, v6
	s_and_b32 exec_lo, exec_lo, vcc_lo
	s_cbranch_execz .LBB35_29
; %bb.6:
	s_cmp_lt_i32 s22, 1
	s_cbranch_scc1 .LBB35_29
; %bb.7:
	s_load_b256 s[4:11], s[0:1], 0x28
	v_lshlrev_b32_e32 v6, 2, v6
	s_load_b128 s[12:15], s[0:1], 0x60
	v_lshrrev_b32_e32 v11, 5, v5
	v_bfe_u32 v12, v5, 5, 1
	v_and_b32_e32 v19, 31, v0
	s_cmp_lg_u32 s16, 1
	v_lshrrev_b32_e32 v13, 5, v0
	s_cselect_b32 s3, -1, 0
	s_cmp_eq_u32 s20, 0
	s_cselect_b32 s2, -1, 0
	s_delay_alu instid0(VALU_DEP_1)
	v_lshl_or_b32 v0, v13, 7, 0x600
	v_mul_u32_u24_e32 v20, 0x300, v13
	s_waitcnt lgkmcnt(0)
	global_load_b64 v[6:7], v6, s[4:5]
	s_load_b64 s[4:5], s[0:1], 0x48
	v_cmp_neq_f64_e64 s0, 0, v[3:4]
	v_mad_u64_u32 v[8:9], null, v11, s14, 0
	s_delay_alu instid0(VALU_DEP_1) | instskip(SKIP_1) | instid1(VALU_DEP_1)
	v_mov_b32_e32 v5, v9
	s_waitcnt vmcnt(0)
	v_mad_u64_u32 v[9:10], null, v11, s15, v[5:6]
	v_lshlrev_b32_e32 v11, 3, v11
	v_subrev_nc_u32_e32 v28, s17, v6
	v_cndmask_b32_e64 v10, 0, 1, s2
	v_subrev_nc_u32_e32 v29, s17, v7
	s_and_b32 s2, s2, exec_lo
	v_add_co_u32 v24, s1, s12, v11
	s_delay_alu instid0(VALU_DEP_1)
	v_add_co_ci_u32_e64 v25, null, s13, 0, s1
	v_cmp_lt_i32_e64 s1, v6, v7
	v_mov_b32_e32 v6, 0
	v_mul_u32_u24_e32 v5, 3, v19
	v_lshlrev_b64 v[8:9], 3, v[8:9]
	v_lshlrev_b32_e32 v21, v10, v12
	v_lshl_or_b32 v22, v19, 2, v0
	s_delay_alu instid0(VALU_DEP_4) | instskip(NEXT) | instid1(VALU_DEP_4)
	v_lshlrev_b32_e32 v5, 3, v5
	v_add_co_u32 v26, vcc_lo, s12, v8
	v_add_co_ci_u32_e32 v27, vcc_lo, s13, v9, vcc_lo
	s_delay_alu instid0(VALU_DEP_3)
	v_mad_u32_u24 v23, 0x300, v13, v5
	s_mov_b32 s12, 0
	s_cselect_b32 s13, 1, 2
	s_branch .LBB35_9
.LBB35_8:                               ;   in Loop: Header=BB35_9 Depth=1
	s_or_b32 exec_lo, exec_lo, s2
	s_add_i32 s12, s12, 32
	s_delay_alu instid0(SALU_CYCLE_1)
	s_cmp_lt_i32 s12, s22
	s_cbranch_scc0 .LBB35_29
.LBB35_9:                               ; =>This Loop Header: Depth=1
                                        ;     Child Loop BB35_12 Depth 2
                                        ;       Child Loop BB35_16 Depth 3
	v_or_b32_e32 v7, s12, v19
	v_mov_b32_e32 v9, 0
	v_mov_b32_e32 v10, 0
	s_delay_alu instid0(VALU_DEP_3)
	v_ashrrev_i32_e32 v8, 31, v7
	s_and_saveexec_b32 s16, s1
	s_cbranch_execz .LBB35_18
; %bb.10:                               ;   in Loop: Header=BB35_9 Depth=1
	s_delay_alu instid0(VALU_DEP_1) | instskip(SKIP_4) | instid1(VALU_DEP_4)
	v_lshlrev_b64 v[9:10], 3, v[7:8]
	v_dual_mov_b32 v11, 0 :: v_dual_mov_b32 v32, v28
	v_mov_b32_e32 v12, 0
	v_cmp_gt_i32_e32 vcc_lo, s22, v7
	s_mov_b32 s18, 0
	v_add_co_u32 v30, s2, s10, v9
	s_delay_alu instid0(VALU_DEP_1)
	v_add_co_ci_u32_e64 v31, s2, s11, v10, s2
	v_dual_mov_b32 v9, v11 :: v_dual_mov_b32 v10, v12
	s_branch .LBB35_12
.LBB35_11:                              ;   in Loop: Header=BB35_12 Depth=2
	s_or_b32 exec_lo, exec_lo, s19
	v_add_nc_u32_e32 v32, 32, v32
	s_delay_alu instid0(VALU_DEP_1) | instskip(NEXT) | instid1(VALU_DEP_1)
	v_cmp_ge_i32_e64 s2, v32, v29
	s_or_b32 s18, s2, s18
	s_delay_alu instid0(SALU_CYCLE_1)
	s_and_not1_b32 exec_lo, exec_lo, s18
	s_cbranch_execz .LBB35_17
.LBB35_12:                              ;   Parent Loop BB35_9 Depth=1
                                        ; =>  This Loop Header: Depth=2
                                        ;       Child Loop BB35_16 Depth 3
	v_dual_mov_b32 v5, 0 :: v_dual_mov_b32 v14, v12
	v_dual_mov_b32 v13, v11 :: v_dual_mov_b32 v16, v12
	v_add_nc_u32_e32 v17, v32, v19
	v_mov_b32_e32 v15, v11
	s_mov_b32 s19, exec_lo
	s_delay_alu instid0(VALU_DEP_2)
	v_cmpx_lt_i32_e64 v17, v29
	s_cbranch_execz .LBB35_14
; %bb.13:                               ;   in Loop: Header=BB35_12 Depth=2
	v_ashrrev_i32_e32 v18, 31, v17
	v_lshl_or_b32 v5, v17, 2, v21
	s_delay_alu instid0(VALU_DEP_2) | instskip(NEXT) | instid1(VALU_DEP_2)
	v_lshlrev_b64 v[13:14], 2, v[17:18]
	v_lshlrev_b64 v[15:16], 3, v[5:6]
	v_or_b32_e32 v5, s13, v5
	s_delay_alu instid0(VALU_DEP_3) | instskip(NEXT) | instid1(VALU_DEP_1)
	v_add_co_u32 v13, s2, s6, v13
	v_add_co_ci_u32_e64 v14, s2, s7, v14, s2
	s_delay_alu instid0(VALU_DEP_3) | instskip(SKIP_2) | instid1(VALU_DEP_1)
	v_lshlrev_b64 v[17:18], 3, v[5:6]
	global_load_b32 v5, v[13:14], off
	v_add_co_u32 v13, s2, s8, v15
	v_add_co_ci_u32_e64 v14, s2, s9, v16, s2
	v_add_co_u32 v15, s2, s8, v17
	s_delay_alu instid0(VALU_DEP_1)
	v_add_co_ci_u32_e64 v16, s2, s9, v18, s2
	s_clause 0x1
	global_load_b64 v[13:14], v[13:14], off
	global_load_b64 v[15:16], v[15:16], off
	s_waitcnt vmcnt(2)
	v_subrev_nc_u32_e32 v5, s17, v5
	s_delay_alu instid0(VALU_DEP_1)
	v_lshlrev_b32_e32 v5, 1, v5
.LBB35_14:                              ;   in Loop: Header=BB35_12 Depth=2
	s_or_b32 exec_lo, exec_lo, s19
	ds_store_b32 v22, v5
	s_waitcnt vmcnt(0)
	ds_store_2addr_b64 v23, v[13:14], v[15:16] offset1:1
	s_waitcnt lgkmcnt(0)
	s_waitcnt_vscnt null, 0x0
	s_barrier
	buffer_gl0_inv
	s_and_saveexec_b32 s19, vcc_lo
	s_cbranch_execz .LBB35_11
; %bb.15:                               ;   in Loop: Header=BB35_12 Depth=2
	v_mov_b32_e32 v5, v20
	s_mov_b32 s20, 0
.LBB35_16:                              ;   Parent Loop BB35_9 Depth=1
                                        ;     Parent Loop BB35_12 Depth=2
                                        ; =>    This Inner Loop Header: Depth=3
	s_delay_alu instid0(SALU_CYCLE_1) | instskip(SKIP_1) | instid1(SALU_CYCLE_1)
	v_add_nc_u32_e32 v13, s20, v0
	s_add_i32 s20, s20, 8
	s_cmpk_lg_i32 s20, 0x80
	ds_load_b64 v[13:14], v13
	s_waitcnt lgkmcnt(0)
	v_ashrrev_i32_e32 v17, 31, v13
	v_mul_lo_u32 v18, v13, s5
	v_mad_u64_u32 v[15:16], null, v13, s4, 0
	v_add_nc_u32_e32 v13, 1, v13
	s_delay_alu instid0(VALU_DEP_4) | instskip(NEXT) | instid1(VALU_DEP_2)
	v_mul_lo_u32 v17, v17, s4
	v_ashrrev_i32_e32 v33, 31, v13
	v_mul_lo_u32 v34, v13, s5
	s_delay_alu instid0(VALU_DEP_3) | instskip(NEXT) | instid1(VALU_DEP_1)
	v_add3_u32 v16, v16, v18, v17
	v_lshlrev_b64 v[15:16], 3, v[15:16]
	s_delay_alu instid0(VALU_DEP_1) | instskip(NEXT) | instid1(VALU_DEP_1)
	v_add_co_u32 v15, s2, v30, v15
	v_add_co_ci_u32_e64 v16, s2, v31, v16, s2
	global_load_b64 v[17:18], v[15:16], off
	v_mad_u64_u32 v[15:16], null, v13, s4, 0
	v_mul_lo_u32 v13, v33, s4
	v_mul_lo_u32 v33, v14, s5
	s_delay_alu instid0(VALU_DEP_2) | instskip(SKIP_1) | instid1(VALU_DEP_2)
	v_add3_u32 v16, v16, v34, v13
	v_ashrrev_i32_e32 v13, 31, v14
	v_lshlrev_b64 v[15:16], 3, v[15:16]
	s_delay_alu instid0(VALU_DEP_2) | instskip(NEXT) | instid1(VALU_DEP_2)
	v_mul_lo_u32 v13, v13, s4
	v_add_co_u32 v15, s2, v30, v15
	s_delay_alu instid0(VALU_DEP_1) | instskip(SKIP_2) | instid1(VALU_DEP_1)
	v_add_co_ci_u32_e64 v16, s2, v31, v16, s2
	global_load_b64 v[37:38], v[15:16], off
	v_mad_u64_u32 v[15:16], null, v14, s4, 0
	v_add3_u32 v16, v16, v33, v13
	s_delay_alu instid0(VALU_DEP_1) | instskip(NEXT) | instid1(VALU_DEP_1)
	v_lshlrev_b64 v[15:16], 3, v[15:16]
	v_add_co_u32 v15, s2, v30, v15
	s_delay_alu instid0(VALU_DEP_1) | instskip(SKIP_2) | instid1(VALU_DEP_1)
	v_add_co_ci_u32_e64 v16, s2, v31, v16, s2
	global_load_b64 v[39:40], v[15:16], off
	v_add_nc_u32_e32 v15, 1, v14
	v_ashrrev_i32_e32 v16, 31, v15
	v_mul_lo_u32 v33, v15, s5
	v_mad_u64_u32 v[13:14], null, v15, s4, 0
	s_delay_alu instid0(VALU_DEP_3) | instskip(NEXT) | instid1(VALU_DEP_1)
	v_mul_lo_u32 v15, v16, s4
	v_add3_u32 v14, v14, v33, v15
	s_delay_alu instid0(VALU_DEP_1) | instskip(NEXT) | instid1(VALU_DEP_1)
	v_lshlrev_b64 v[13:14], 3, v[13:14]
	v_add_co_u32 v13, s2, v30, v13
	s_delay_alu instid0(VALU_DEP_1)
	v_add_co_ci_u32_e64 v14, s2, v31, v14, s2
	global_load_b64 v[41:42], v[13:14], off
	ds_load_b128 v[13:16], v5
	ds_load_2addr_b64 v[33:36], v5 offset0:3 offset1:4
	v_add_nc_u32_e32 v5, 48, v5
	s_waitcnt vmcnt(3) lgkmcnt(1)
	v_fma_f64 v[9:10], v[13:14], v[17:18], v[9:10]
	s_waitcnt vmcnt(2)
	s_delay_alu instid0(VALU_DEP_1) | instskip(SKIP_1) | instid1(VALU_DEP_1)
	v_fma_f64 v[9:10], v[15:16], v[37:38], v[9:10]
	s_waitcnt vmcnt(1) lgkmcnt(0)
	v_fma_f64 v[9:10], v[33:34], v[39:40], v[9:10]
	s_waitcnt vmcnt(0)
	s_delay_alu instid0(VALU_DEP_1)
	v_fma_f64 v[9:10], v[35:36], v[41:42], v[9:10]
	s_cbranch_scc1 .LBB35_16
	s_branch .LBB35_11
.LBB35_17:                              ;   in Loop: Header=BB35_9 Depth=1
	s_or_b32 exec_lo, exec_lo, s18
.LBB35_18:                              ;   in Loop: Header=BB35_9 Depth=1
	s_delay_alu instid0(SALU_CYCLE_1) | instskip(NEXT) | instid1(SALU_CYCLE_1)
	s_or_b32 exec_lo, exec_lo, s16
	s_mov_b32 s2, exec_lo
	v_cmpx_gt_i32_e64 s22, v7
	s_cbranch_execz .LBB35_8
; %bb.19:                               ;   in Loop: Header=BB35_9 Depth=1
	s_and_saveexec_b32 s16, s0
	s_delay_alu instid0(SALU_CYCLE_1)
	s_xor_b32 s16, exec_lo, s16
	s_cbranch_execz .LBB35_24
; %bb.20:                               ;   in Loop: Header=BB35_9 Depth=1
	s_and_b32 vcc_lo, exec_lo, s3
	s_mov_b32 s18, -1
	s_cbranch_vccz .LBB35_22
; %bb.21:                               ;   in Loop: Header=BB35_9 Depth=1
	v_lshlrev_b64 v[11:12], 3, v[7:8]
	s_delay_alu instid0(VALU_DEP_4) | instskip(SKIP_1) | instid1(VALU_DEP_2)
	v_mul_f64 v[15:16], v[1:2], v[9:10]
	s_mov_b32 s18, 0
	v_add_co_u32 v11, vcc_lo, v26, v11
	s_delay_alu instid0(VALU_DEP_3)
	v_add_co_ci_u32_e32 v12, vcc_lo, v27, v12, vcc_lo
	global_load_b64 v[13:14], v[11:12], off
	s_waitcnt vmcnt(0)
	v_fma_f64 v[13:14], v[3:4], v[13:14], v[15:16]
	global_store_b64 v[11:12], v[13:14], off
.LBB35_22:                              ;   in Loop: Header=BB35_9 Depth=1
	s_and_not1_b32 vcc_lo, exec_lo, s18
	s_cbranch_vccnz .LBB35_24
; %bb.23:                               ;   in Loop: Header=BB35_9 Depth=1
	v_mul_lo_u32 v5, v8, s14
	v_mul_lo_u32 v8, v7, s15
	v_mad_u64_u32 v[11:12], null, v7, s14, 0
	v_mul_f64 v[9:10], v[1:2], v[9:10]
	s_delay_alu instid0(VALU_DEP_2) | instskip(NEXT) | instid1(VALU_DEP_1)
	v_add3_u32 v12, v12, v8, v5
	v_lshlrev_b64 v[7:8], 3, v[11:12]
	s_delay_alu instid0(VALU_DEP_1) | instskip(NEXT) | instid1(VALU_DEP_2)
	v_add_co_u32 v7, vcc_lo, v24, v7
	v_add_co_ci_u32_e32 v8, vcc_lo, v25, v8, vcc_lo
	global_load_b64 v[11:12], v[7:8], off
	s_waitcnt vmcnt(0)
	v_fma_f64 v[9:10], v[3:4], v[11:12], v[9:10]
	global_store_b64 v[7:8], v[9:10], off
                                        ; implicit-def: $vgpr9_vgpr10
                                        ; implicit-def: $vgpr7
.LBB35_24:                              ;   in Loop: Header=BB35_9 Depth=1
	s_and_not1_saveexec_b32 s16, s16
	s_cbranch_execz .LBB35_8
; %bb.25:                               ;   in Loop: Header=BB35_9 Depth=1
	s_delay_alu instid0(VALU_DEP_3)
	v_mul_f64 v[9:10], v[1:2], v[9:10]
	s_and_b32 vcc_lo, exec_lo, s3
	s_mov_b32 s16, -1
	s_cbranch_vccz .LBB35_27
; %bb.26:                               ;   in Loop: Header=BB35_9 Depth=1
	v_lshlrev_b64 v[11:12], 3, v[7:8]
	s_mov_b32 s16, 0
	s_delay_alu instid0(VALU_DEP_1) | instskip(NEXT) | instid1(VALU_DEP_2)
	v_add_co_u32 v11, vcc_lo, v26, v11
	v_add_co_ci_u32_e32 v12, vcc_lo, v27, v12, vcc_lo
	global_store_b64 v[11:12], v[9:10], off
.LBB35_27:                              ;   in Loop: Header=BB35_9 Depth=1
	s_and_not1_b32 vcc_lo, exec_lo, s16
	s_cbranch_vccnz .LBB35_8
; %bb.28:                               ;   in Loop: Header=BB35_9 Depth=1
	v_mul_lo_u32 v5, v8, s14
	v_mul_lo_u32 v8, v7, s15
	v_mad_u64_u32 v[11:12], null, v7, s14, 0
	s_delay_alu instid0(VALU_DEP_1) | instskip(NEXT) | instid1(VALU_DEP_1)
	v_add3_u32 v12, v12, v8, v5
	v_lshlrev_b64 v[7:8], 3, v[11:12]
	s_delay_alu instid0(VALU_DEP_1) | instskip(NEXT) | instid1(VALU_DEP_2)
	v_add_co_u32 v7, vcc_lo, v24, v7
	v_add_co_ci_u32_e32 v8, vcc_lo, v25, v8, vcc_lo
	global_store_b64 v[7:8], v[9:10], off
	s_branch .LBB35_8
.LBB35_29:
	s_nop 0
	s_sendmsg sendmsg(MSG_DEALLOC_VGPRS)
	s_endpgm
	.section	.rodata,"a",@progbits
	.p2align	6, 0x0
	.amdhsa_kernel _ZN9rocsparseL29bsrmmnt_small_blockdim_kernelILj64ELj32ELj2EiiddddEEv20rocsparse_direction_T3_S2_llNS_24const_host_device_scalarIT7_EEPKT2_PKS2_PKT4_PKT5_llS5_PT6_ll16rocsparse_order_21rocsparse_index_base_b
		.amdhsa_group_segment_fixed_size 1792
		.amdhsa_private_segment_fixed_size 0
		.amdhsa_kernarg_size 392
		.amdhsa_user_sgpr_count 15
		.amdhsa_user_sgpr_dispatch_ptr 0
		.amdhsa_user_sgpr_queue_ptr 0
		.amdhsa_user_sgpr_kernarg_segment_ptr 1
		.amdhsa_user_sgpr_dispatch_id 0
		.amdhsa_user_sgpr_private_segment_size 0
		.amdhsa_wavefront_size32 1
		.amdhsa_uses_dynamic_stack 0
		.amdhsa_enable_private_segment 0
		.amdhsa_system_sgpr_workgroup_id_x 1
		.amdhsa_system_sgpr_workgroup_id_y 0
		.amdhsa_system_sgpr_workgroup_id_z 0
		.amdhsa_system_sgpr_workgroup_info 0
		.amdhsa_system_vgpr_workitem_id 0
		.amdhsa_next_free_vgpr 43
		.amdhsa_next_free_sgpr 24
		.amdhsa_reserve_vcc 1
		.amdhsa_float_round_mode_32 0
		.amdhsa_float_round_mode_16_64 0
		.amdhsa_float_denorm_mode_32 3
		.amdhsa_float_denorm_mode_16_64 3
		.amdhsa_dx10_clamp 1
		.amdhsa_ieee_mode 1
		.amdhsa_fp16_overflow 0
		.amdhsa_workgroup_processor_mode 1
		.amdhsa_memory_ordered 1
		.amdhsa_forward_progress 0
		.amdhsa_shared_vgpr_count 0
		.amdhsa_exception_fp_ieee_invalid_op 0
		.amdhsa_exception_fp_denorm_src 0
		.amdhsa_exception_fp_ieee_div_zero 0
		.amdhsa_exception_fp_ieee_overflow 0
		.amdhsa_exception_fp_ieee_underflow 0
		.amdhsa_exception_fp_ieee_inexact 0
		.amdhsa_exception_int_div_zero 0
	.end_amdhsa_kernel
	.section	.text._ZN9rocsparseL29bsrmmnt_small_blockdim_kernelILj64ELj32ELj2EiiddddEEv20rocsparse_direction_T3_S2_llNS_24const_host_device_scalarIT7_EEPKT2_PKS2_PKT4_PKT5_llS5_PT6_ll16rocsparse_order_21rocsparse_index_base_b,"axG",@progbits,_ZN9rocsparseL29bsrmmnt_small_blockdim_kernelILj64ELj32ELj2EiiddddEEv20rocsparse_direction_T3_S2_llNS_24const_host_device_scalarIT7_EEPKT2_PKS2_PKT4_PKT5_llS5_PT6_ll16rocsparse_order_21rocsparse_index_base_b,comdat
.Lfunc_end35:
	.size	_ZN9rocsparseL29bsrmmnt_small_blockdim_kernelILj64ELj32ELj2EiiddddEEv20rocsparse_direction_T3_S2_llNS_24const_host_device_scalarIT7_EEPKT2_PKS2_PKT4_PKT5_llS5_PT6_ll16rocsparse_order_21rocsparse_index_base_b, .Lfunc_end35-_ZN9rocsparseL29bsrmmnt_small_blockdim_kernelILj64ELj32ELj2EiiddddEEv20rocsparse_direction_T3_S2_llNS_24const_host_device_scalarIT7_EEPKT2_PKS2_PKT4_PKT5_llS5_PT6_ll16rocsparse_order_21rocsparse_index_base_b
                                        ; -- End function
	.section	.AMDGPU.csdata,"",@progbits
; Kernel info:
; codeLenInByte = 1704
; NumSgprs: 26
; NumVgprs: 43
; ScratchSize: 0
; MemoryBound: 0
; FloatMode: 240
; IeeeMode: 1
; LDSByteSize: 1792 bytes/workgroup (compile time only)
; SGPRBlocks: 3
; VGPRBlocks: 5
; NumSGPRsForWavesPerEU: 26
; NumVGPRsForWavesPerEU: 43
; Occupancy: 16
; WaveLimiterHint : 1
; COMPUTE_PGM_RSRC2:SCRATCH_EN: 0
; COMPUTE_PGM_RSRC2:USER_SGPR: 15
; COMPUTE_PGM_RSRC2:TRAP_HANDLER: 0
; COMPUTE_PGM_RSRC2:TGID_X_EN: 1
; COMPUTE_PGM_RSRC2:TGID_Y_EN: 0
; COMPUTE_PGM_RSRC2:TGID_Z_EN: 0
; COMPUTE_PGM_RSRC2:TIDIG_COMP_CNT: 0
	.section	.text._ZN9rocsparseL29bsrmmnt_small_blockdim_kernelILj64ELj64ELj2EiiddddEEv20rocsparse_direction_T3_S2_llNS_24const_host_device_scalarIT7_EEPKT2_PKS2_PKT4_PKT5_llS5_PT6_ll16rocsparse_order_21rocsparse_index_base_b,"axG",@progbits,_ZN9rocsparseL29bsrmmnt_small_blockdim_kernelILj64ELj64ELj2EiiddddEEv20rocsparse_direction_T3_S2_llNS_24const_host_device_scalarIT7_EEPKT2_PKS2_PKT4_PKT5_llS5_PT6_ll16rocsparse_order_21rocsparse_index_base_b,comdat
	.globl	_ZN9rocsparseL29bsrmmnt_small_blockdim_kernelILj64ELj64ELj2EiiddddEEv20rocsparse_direction_T3_S2_llNS_24const_host_device_scalarIT7_EEPKT2_PKS2_PKT4_PKT5_llS5_PT6_ll16rocsparse_order_21rocsparse_index_base_b ; -- Begin function _ZN9rocsparseL29bsrmmnt_small_blockdim_kernelILj64ELj64ELj2EiiddddEEv20rocsparse_direction_T3_S2_llNS_24const_host_device_scalarIT7_EEPKT2_PKS2_PKT4_PKT5_llS5_PT6_ll16rocsparse_order_21rocsparse_index_base_b
	.p2align	8
	.type	_ZN9rocsparseL29bsrmmnt_small_blockdim_kernelILj64ELj64ELj2EiiddddEEv20rocsparse_direction_T3_S2_llNS_24const_host_device_scalarIT7_EEPKT2_PKS2_PKT4_PKT5_llS5_PT6_ll16rocsparse_order_21rocsparse_index_base_b,@function
_ZN9rocsparseL29bsrmmnt_small_blockdim_kernelILj64ELj64ELj2EiiddddEEv20rocsparse_direction_T3_S2_llNS_24const_host_device_scalarIT7_EEPKT2_PKS2_PKT4_PKT5_llS5_PT6_ll16rocsparse_order_21rocsparse_index_base_b: ; @_ZN9rocsparseL29bsrmmnt_small_blockdim_kernelILj64ELj64ELj2EiiddddEEv20rocsparse_direction_T3_S2_llNS_24const_host_device_scalarIT7_EEPKT2_PKS2_PKT4_PKT5_llS5_PT6_ll16rocsparse_order_21rocsparse_index_base_b
; %bb.0:
	s_clause 0x2
	s_load_b128 s[16:19], s[0:1], 0x78
	s_load_b64 s[4:5], s[0:1], 0x20
	s_load_b64 s[2:3], s[0:1], 0x58
	s_waitcnt lgkmcnt(0)
	s_bitcmp1_b32 s18, 0
	v_dual_mov_b32 v1, s4 :: v_dual_mov_b32 v2, s5
	s_cselect_b32 s6, -1, 0
	s_delay_alu instid0(SALU_CYCLE_1)
	s_and_b32 vcc_lo, exec_lo, s6
	s_xor_b32 s6, s6, -1
	s_cbranch_vccnz .LBB36_2
; %bb.1:
	v_dual_mov_b32 v1, s4 :: v_dual_mov_b32 v2, s5
	flat_load_b64 v[1:2], v[1:2]
.LBB36_2:
	v_dual_mov_b32 v4, s3 :: v_dual_mov_b32 v3, s2
	s_and_not1_b32 vcc_lo, exec_lo, s6
	s_cbranch_vccnz .LBB36_4
; %bb.3:
	v_dual_mov_b32 v4, s3 :: v_dual_mov_b32 v3, s2
	flat_load_b64 v[3:4], v[3:4]
.LBB36_4:
	s_waitcnt vmcnt(0) lgkmcnt(0)
	v_cmp_neq_f64_e32 vcc_lo, 0, v[1:2]
	v_cmp_neq_f64_e64 s2, 1.0, v[3:4]
	s_delay_alu instid0(VALU_DEP_1) | instskip(NEXT) | instid1(SALU_CYCLE_1)
	s_or_b32 s2, vcc_lo, s2
	s_and_saveexec_b32 s3, s2
	s_cbranch_execz .LBB36_29
; %bb.5:
	s_clause 0x1
	s_load_b32 s2, s[0:1], 0x94
	s_load_b128 s[20:23], s[0:1], 0x0
	s_waitcnt lgkmcnt(0)
	s_and_b32 s2, s2, 0xffff
	s_delay_alu instid0(SALU_CYCLE_1) | instskip(NEXT) | instid1(VALU_DEP_1)
	v_mad_u64_u32 v[5:6], null, s15, s2, v[0:1]
	v_lshrrev_b32_e32 v6, 7, v5
	s_delay_alu instid0(VALU_DEP_1)
	v_cmp_gt_i32_e32 vcc_lo, s21, v6
	s_and_b32 exec_lo, exec_lo, vcc_lo
	s_cbranch_execz .LBB36_29
; %bb.6:
	s_cmp_lt_i32 s22, 1
	s_cbranch_scc1 .LBB36_29
; %bb.7:
	s_load_b256 s[4:11], s[0:1], 0x28
	v_lshlrev_b32_e32 v6, 2, v6
	s_load_b128 s[12:15], s[0:1], 0x60
	v_lshrrev_b32_e32 v12, 6, v5
	s_cmp_lg_u32 s16, 1
	v_bfe_u32 v5, v5, 6, 1
	s_cselect_b32 s3, -1, 0
	s_cmp_eq_u32 s20, 0
	v_lshl_or_b32 v19, v0, 2, 0x600
	s_cselect_b32 s2, -1, 0
	s_delay_alu instid0(SALU_CYCLE_1) | instskip(SKIP_1) | instid1(VALU_DEP_1)
	v_cndmask_b32_e64 v13, 0, 1, s2
	s_and_b32 s2, s2, exec_lo
	v_lshlrev_b32_e32 v21, v13, v5
	s_waitcnt lgkmcnt(0)
	global_load_b64 v[6:7], v6, s[4:5]
	s_load_b64 s[4:5], s[0:1], 0x48
	v_cmp_neq_f64_e64 s0, 0, v[3:4]
	v_mad_u64_u32 v[8:9], null, v12, s14, 0
	s_delay_alu instid0(VALU_DEP_1) | instskip(SKIP_1) | instid1(VALU_DEP_1)
	v_mad_u64_u32 v[10:11], null, v12, s15, v[9:10]
	v_mul_u32_u24_e32 v11, 3, v0
	v_dual_mov_b32 v9, v10 :: v_dual_lshlrev_b32 v20, 3, v11
	v_lshlrev_b32_e32 v10, 3, v12
	s_delay_alu instid0(VALU_DEP_2) | instskip(NEXT) | instid1(VALU_DEP_2)
	v_lshlrev_b64 v[8:9], 3, v[8:9]
	v_add_co_u32 v22, s1, s12, v10
	s_delay_alu instid0(VALU_DEP_1) | instskip(NEXT) | instid1(VALU_DEP_3)
	v_add_co_ci_u32_e64 v23, null, s13, 0, s1
	v_add_co_u32 v24, vcc_lo, s12, v8
	s_delay_alu instid0(VALU_DEP_4)
	v_add_co_ci_u32_e32 v25, vcc_lo, s13, v9, vcc_lo
	s_mov_b32 s12, 0
	s_cselect_b32 s13, 1, 2
	s_waitcnt vmcnt(0)
	v_subrev_nc_u32_e32 v26, s17, v6
	v_subrev_nc_u32_e32 v27, s17, v7
	v_cmp_lt_i32_e64 s1, v6, v7
	v_mov_b32_e32 v6, 0
	s_branch .LBB36_9
.LBB36_8:                               ;   in Loop: Header=BB36_9 Depth=1
	s_or_b32 exec_lo, exec_lo, s2
	s_add_i32 s12, s12, 64
	s_delay_alu instid0(SALU_CYCLE_1)
	s_cmp_lt_i32 s12, s22
	s_cbranch_scc0 .LBB36_29
.LBB36_9:                               ; =>This Loop Header: Depth=1
                                        ;     Child Loop BB36_12 Depth 2
                                        ;       Child Loop BB36_16 Depth 3
	v_or_b32_e32 v7, s12, v0
	v_mov_b32_e32 v9, 0
	v_mov_b32_e32 v10, 0
	s_delay_alu instid0(VALU_DEP_3)
	v_ashrrev_i32_e32 v8, 31, v7
	s_and_saveexec_b32 s16, s1
	s_cbranch_execz .LBB36_18
; %bb.10:                               ;   in Loop: Header=BB36_9 Depth=1
	s_delay_alu instid0(VALU_DEP_1) | instskip(SKIP_4) | instid1(VALU_DEP_4)
	v_lshlrev_b64 v[9:10], 3, v[7:8]
	v_dual_mov_b32 v11, 0 :: v_dual_mov_b32 v30, v26
	v_mov_b32_e32 v12, 0
	v_cmp_gt_i32_e32 vcc_lo, s22, v7
	s_mov_b32 s18, 0
	v_add_co_u32 v28, s2, s10, v9
	s_delay_alu instid0(VALU_DEP_1)
	v_add_co_ci_u32_e64 v29, s2, s11, v10, s2
	v_dual_mov_b32 v9, v11 :: v_dual_mov_b32 v10, v12
	s_branch .LBB36_12
.LBB36_11:                              ;   in Loop: Header=BB36_12 Depth=2
	s_or_b32 exec_lo, exec_lo, s19
	v_add_nc_u32_e32 v30, 64, v30
	s_delay_alu instid0(VALU_DEP_1) | instskip(NEXT) | instid1(VALU_DEP_1)
	v_cmp_ge_i32_e64 s2, v30, v27
	s_or_b32 s18, s2, s18
	s_delay_alu instid0(SALU_CYCLE_1)
	s_and_not1_b32 exec_lo, exec_lo, s18
	s_cbranch_execz .LBB36_17
.LBB36_12:                              ;   Parent Loop BB36_9 Depth=1
                                        ; =>  This Loop Header: Depth=2
                                        ;       Child Loop BB36_16 Depth 3
	v_dual_mov_b32 v14, v12 :: v_dual_add_nc_u32 v17, v30, v0
	v_dual_mov_b32 v5, 0 :: v_dual_mov_b32 v16, v12
	v_mov_b32_e32 v13, v11
	v_mov_b32_e32 v15, v11
	s_mov_b32 s19, exec_lo
	v_cmpx_lt_i32_e64 v17, v27
	s_cbranch_execz .LBB36_14
; %bb.13:                               ;   in Loop: Header=BB36_12 Depth=2
	v_ashrrev_i32_e32 v18, 31, v17
	v_lshl_or_b32 v5, v17, 2, v21
	s_delay_alu instid0(VALU_DEP_2) | instskip(NEXT) | instid1(VALU_DEP_2)
	v_lshlrev_b64 v[13:14], 2, v[17:18]
	v_lshlrev_b64 v[15:16], 3, v[5:6]
	v_or_b32_e32 v5, s13, v5
	s_delay_alu instid0(VALU_DEP_3) | instskip(NEXT) | instid1(VALU_DEP_1)
	v_add_co_u32 v13, s2, s6, v13
	v_add_co_ci_u32_e64 v14, s2, s7, v14, s2
	s_delay_alu instid0(VALU_DEP_3) | instskip(SKIP_2) | instid1(VALU_DEP_1)
	v_lshlrev_b64 v[17:18], 3, v[5:6]
	global_load_b32 v5, v[13:14], off
	v_add_co_u32 v13, s2, s8, v15
	v_add_co_ci_u32_e64 v14, s2, s9, v16, s2
	v_add_co_u32 v15, s2, s8, v17
	s_delay_alu instid0(VALU_DEP_1)
	v_add_co_ci_u32_e64 v16, s2, s9, v18, s2
	s_clause 0x1
	global_load_b64 v[13:14], v[13:14], off
	global_load_b64 v[15:16], v[15:16], off
	s_waitcnt vmcnt(2)
	v_subrev_nc_u32_e32 v5, s17, v5
	s_delay_alu instid0(VALU_DEP_1)
	v_lshlrev_b32_e32 v5, 1, v5
.LBB36_14:                              ;   in Loop: Header=BB36_12 Depth=2
	s_or_b32 exec_lo, exec_lo, s19
	ds_store_b32 v19, v5
	s_waitcnt vmcnt(0)
	ds_store_2addr_b64 v20, v[13:14], v[15:16] offset1:1
	s_waitcnt lgkmcnt(0)
	s_waitcnt_vscnt null, 0x0
	s_barrier
	buffer_gl0_inv
	s_and_saveexec_b32 s19, vcc_lo
	s_cbranch_execz .LBB36_11
; %bb.15:                               ;   in Loop: Header=BB36_12 Depth=2
	v_mov_b32_e32 v5, 0
	s_mov_b32 s20, 0
.LBB36_16:                              ;   Parent Loop BB36_9 Depth=1
                                        ;     Parent Loop BB36_12 Depth=2
                                        ; =>    This Inner Loop Header: Depth=3
	s_delay_alu instid0(SALU_CYCLE_1) | instskip(SKIP_1) | instid1(SALU_CYCLE_1)
	v_add_nc_u32_e64 v13, 0x600, s20
	s_add_i32 s20, s20, 8
	s_cmpk_lg_i32 s20, 0x100
	ds_load_b64 v[13:14], v13
	s_waitcnt lgkmcnt(0)
	v_ashrrev_i32_e32 v17, 31, v13
	v_mul_lo_u32 v18, v13, s5
	v_mad_u64_u32 v[15:16], null, v13, s4, 0
	v_add_nc_u32_e32 v13, 1, v13
	s_delay_alu instid0(VALU_DEP_4) | instskip(NEXT) | instid1(VALU_DEP_2)
	v_mul_lo_u32 v17, v17, s4
	v_ashrrev_i32_e32 v31, 31, v13
	v_mul_lo_u32 v32, v13, s5
	s_delay_alu instid0(VALU_DEP_3) | instskip(NEXT) | instid1(VALU_DEP_1)
	v_add3_u32 v16, v16, v18, v17
	v_lshlrev_b64 v[15:16], 3, v[15:16]
	s_delay_alu instid0(VALU_DEP_1) | instskip(NEXT) | instid1(VALU_DEP_1)
	v_add_co_u32 v15, s2, v28, v15
	v_add_co_ci_u32_e64 v16, s2, v29, v16, s2
	global_load_b64 v[17:18], v[15:16], off
	v_mad_u64_u32 v[15:16], null, v13, s4, 0
	v_mul_lo_u32 v13, v31, s4
	v_mul_lo_u32 v31, v14, s5
	s_delay_alu instid0(VALU_DEP_2) | instskip(SKIP_1) | instid1(VALU_DEP_2)
	v_add3_u32 v16, v16, v32, v13
	v_ashrrev_i32_e32 v13, 31, v14
	v_lshlrev_b64 v[15:16], 3, v[15:16]
	s_delay_alu instid0(VALU_DEP_2) | instskip(NEXT) | instid1(VALU_DEP_2)
	v_mul_lo_u32 v13, v13, s4
	v_add_co_u32 v15, s2, v28, v15
	s_delay_alu instid0(VALU_DEP_1) | instskip(SKIP_2) | instid1(VALU_DEP_1)
	v_add_co_ci_u32_e64 v16, s2, v29, v16, s2
	global_load_b64 v[35:36], v[15:16], off
	v_mad_u64_u32 v[15:16], null, v14, s4, 0
	v_add3_u32 v16, v16, v31, v13
	s_delay_alu instid0(VALU_DEP_1) | instskip(NEXT) | instid1(VALU_DEP_1)
	v_lshlrev_b64 v[15:16], 3, v[15:16]
	v_add_co_u32 v15, s2, v28, v15
	s_delay_alu instid0(VALU_DEP_1) | instskip(SKIP_2) | instid1(VALU_DEP_1)
	v_add_co_ci_u32_e64 v16, s2, v29, v16, s2
	global_load_b64 v[37:38], v[15:16], off
	v_add_nc_u32_e32 v15, 1, v14
	v_ashrrev_i32_e32 v16, 31, v15
	v_mul_lo_u32 v31, v15, s5
	v_mad_u64_u32 v[13:14], null, v15, s4, 0
	s_delay_alu instid0(VALU_DEP_3) | instskip(NEXT) | instid1(VALU_DEP_1)
	v_mul_lo_u32 v15, v16, s4
	v_add3_u32 v14, v14, v31, v15
	s_delay_alu instid0(VALU_DEP_1) | instskip(NEXT) | instid1(VALU_DEP_1)
	v_lshlrev_b64 v[13:14], 3, v[13:14]
	v_add_co_u32 v13, s2, v28, v13
	s_delay_alu instid0(VALU_DEP_1)
	v_add_co_ci_u32_e64 v14, s2, v29, v14, s2
	global_load_b64 v[39:40], v[13:14], off
	ds_load_b128 v[13:16], v5
	ds_load_2addr_b64 v[31:34], v5 offset0:3 offset1:4
	v_add_nc_u32_e32 v5, 48, v5
	s_waitcnt vmcnt(3) lgkmcnt(1)
	v_fma_f64 v[9:10], v[13:14], v[17:18], v[9:10]
	s_waitcnt vmcnt(2)
	s_delay_alu instid0(VALU_DEP_1) | instskip(SKIP_1) | instid1(VALU_DEP_1)
	v_fma_f64 v[9:10], v[15:16], v[35:36], v[9:10]
	s_waitcnt vmcnt(1) lgkmcnt(0)
	v_fma_f64 v[9:10], v[31:32], v[37:38], v[9:10]
	s_waitcnt vmcnt(0)
	s_delay_alu instid0(VALU_DEP_1)
	v_fma_f64 v[9:10], v[33:34], v[39:40], v[9:10]
	s_cbranch_scc1 .LBB36_16
	s_branch .LBB36_11
.LBB36_17:                              ;   in Loop: Header=BB36_9 Depth=1
	s_or_b32 exec_lo, exec_lo, s18
.LBB36_18:                              ;   in Loop: Header=BB36_9 Depth=1
	s_delay_alu instid0(SALU_CYCLE_1) | instskip(NEXT) | instid1(SALU_CYCLE_1)
	s_or_b32 exec_lo, exec_lo, s16
	s_mov_b32 s2, exec_lo
	v_cmpx_gt_i32_e64 s22, v7
	s_cbranch_execz .LBB36_8
; %bb.19:                               ;   in Loop: Header=BB36_9 Depth=1
	s_and_saveexec_b32 s16, s0
	s_delay_alu instid0(SALU_CYCLE_1)
	s_xor_b32 s16, exec_lo, s16
	s_cbranch_execz .LBB36_24
; %bb.20:                               ;   in Loop: Header=BB36_9 Depth=1
	s_and_b32 vcc_lo, exec_lo, s3
	s_mov_b32 s18, -1
	s_cbranch_vccz .LBB36_22
; %bb.21:                               ;   in Loop: Header=BB36_9 Depth=1
	v_lshlrev_b64 v[11:12], 3, v[7:8]
	s_delay_alu instid0(VALU_DEP_4) | instskip(SKIP_1) | instid1(VALU_DEP_2)
	v_mul_f64 v[15:16], v[1:2], v[9:10]
	s_mov_b32 s18, 0
	v_add_co_u32 v11, vcc_lo, v24, v11
	s_delay_alu instid0(VALU_DEP_3)
	v_add_co_ci_u32_e32 v12, vcc_lo, v25, v12, vcc_lo
	global_load_b64 v[13:14], v[11:12], off
	s_waitcnt vmcnt(0)
	v_fma_f64 v[13:14], v[3:4], v[13:14], v[15:16]
	global_store_b64 v[11:12], v[13:14], off
.LBB36_22:                              ;   in Loop: Header=BB36_9 Depth=1
	s_and_not1_b32 vcc_lo, exec_lo, s18
	s_cbranch_vccnz .LBB36_24
; %bb.23:                               ;   in Loop: Header=BB36_9 Depth=1
	v_mul_lo_u32 v5, v8, s14
	v_mul_lo_u32 v8, v7, s15
	v_mad_u64_u32 v[11:12], null, v7, s14, 0
	v_mul_f64 v[9:10], v[1:2], v[9:10]
	s_delay_alu instid0(VALU_DEP_2) | instskip(NEXT) | instid1(VALU_DEP_1)
	v_add3_u32 v12, v12, v8, v5
	v_lshlrev_b64 v[7:8], 3, v[11:12]
	s_delay_alu instid0(VALU_DEP_1) | instskip(NEXT) | instid1(VALU_DEP_2)
	v_add_co_u32 v7, vcc_lo, v22, v7
	v_add_co_ci_u32_e32 v8, vcc_lo, v23, v8, vcc_lo
	global_load_b64 v[11:12], v[7:8], off
	s_waitcnt vmcnt(0)
	v_fma_f64 v[9:10], v[3:4], v[11:12], v[9:10]
	global_store_b64 v[7:8], v[9:10], off
                                        ; implicit-def: $vgpr9_vgpr10
                                        ; implicit-def: $vgpr7
.LBB36_24:                              ;   in Loop: Header=BB36_9 Depth=1
	s_and_not1_saveexec_b32 s16, s16
	s_cbranch_execz .LBB36_8
; %bb.25:                               ;   in Loop: Header=BB36_9 Depth=1
	s_delay_alu instid0(VALU_DEP_3)
	v_mul_f64 v[9:10], v[1:2], v[9:10]
	s_and_b32 vcc_lo, exec_lo, s3
	s_mov_b32 s16, -1
	s_cbranch_vccz .LBB36_27
; %bb.26:                               ;   in Loop: Header=BB36_9 Depth=1
	v_lshlrev_b64 v[11:12], 3, v[7:8]
	s_mov_b32 s16, 0
	s_delay_alu instid0(VALU_DEP_1) | instskip(NEXT) | instid1(VALU_DEP_2)
	v_add_co_u32 v11, vcc_lo, v24, v11
	v_add_co_ci_u32_e32 v12, vcc_lo, v25, v12, vcc_lo
	global_store_b64 v[11:12], v[9:10], off
.LBB36_27:                              ;   in Loop: Header=BB36_9 Depth=1
	s_and_not1_b32 vcc_lo, exec_lo, s16
	s_cbranch_vccnz .LBB36_8
; %bb.28:                               ;   in Loop: Header=BB36_9 Depth=1
	v_mul_lo_u32 v5, v8, s14
	v_mul_lo_u32 v8, v7, s15
	v_mad_u64_u32 v[11:12], null, v7, s14, 0
	s_delay_alu instid0(VALU_DEP_1) | instskip(NEXT) | instid1(VALU_DEP_1)
	v_add3_u32 v12, v12, v8, v5
	v_lshlrev_b64 v[7:8], 3, v[11:12]
	s_delay_alu instid0(VALU_DEP_1) | instskip(NEXT) | instid1(VALU_DEP_2)
	v_add_co_u32 v7, vcc_lo, v22, v7
	v_add_co_ci_u32_e32 v8, vcc_lo, v23, v8, vcc_lo
	global_store_b64 v[7:8], v[9:10], off
	s_branch .LBB36_8
.LBB36_29:
	s_nop 0
	s_sendmsg sendmsg(MSG_DEALLOC_VGPRS)
	s_endpgm
	.section	.rodata,"a",@progbits
	.p2align	6, 0x0
	.amdhsa_kernel _ZN9rocsparseL29bsrmmnt_small_blockdim_kernelILj64ELj64ELj2EiiddddEEv20rocsparse_direction_T3_S2_llNS_24const_host_device_scalarIT7_EEPKT2_PKS2_PKT4_PKT5_llS5_PT6_ll16rocsparse_order_21rocsparse_index_base_b
		.amdhsa_group_segment_fixed_size 1792
		.amdhsa_private_segment_fixed_size 0
		.amdhsa_kernarg_size 392
		.amdhsa_user_sgpr_count 15
		.amdhsa_user_sgpr_dispatch_ptr 0
		.amdhsa_user_sgpr_queue_ptr 0
		.amdhsa_user_sgpr_kernarg_segment_ptr 1
		.amdhsa_user_sgpr_dispatch_id 0
		.amdhsa_user_sgpr_private_segment_size 0
		.amdhsa_wavefront_size32 1
		.amdhsa_uses_dynamic_stack 0
		.amdhsa_enable_private_segment 0
		.amdhsa_system_sgpr_workgroup_id_x 1
		.amdhsa_system_sgpr_workgroup_id_y 0
		.amdhsa_system_sgpr_workgroup_id_z 0
		.amdhsa_system_sgpr_workgroup_info 0
		.amdhsa_system_vgpr_workitem_id 0
		.amdhsa_next_free_vgpr 41
		.amdhsa_next_free_sgpr 24
		.amdhsa_reserve_vcc 1
		.amdhsa_float_round_mode_32 0
		.amdhsa_float_round_mode_16_64 0
		.amdhsa_float_denorm_mode_32 3
		.amdhsa_float_denorm_mode_16_64 3
		.amdhsa_dx10_clamp 1
		.amdhsa_ieee_mode 1
		.amdhsa_fp16_overflow 0
		.amdhsa_workgroup_processor_mode 1
		.amdhsa_memory_ordered 1
		.amdhsa_forward_progress 0
		.amdhsa_shared_vgpr_count 0
		.amdhsa_exception_fp_ieee_invalid_op 0
		.amdhsa_exception_fp_denorm_src 0
		.amdhsa_exception_fp_ieee_div_zero 0
		.amdhsa_exception_fp_ieee_overflow 0
		.amdhsa_exception_fp_ieee_underflow 0
		.amdhsa_exception_fp_ieee_inexact 0
		.amdhsa_exception_int_div_zero 0
	.end_amdhsa_kernel
	.section	.text._ZN9rocsparseL29bsrmmnt_small_blockdim_kernelILj64ELj64ELj2EiiddddEEv20rocsparse_direction_T3_S2_llNS_24const_host_device_scalarIT7_EEPKT2_PKS2_PKT4_PKT5_llS5_PT6_ll16rocsparse_order_21rocsparse_index_base_b,"axG",@progbits,_ZN9rocsparseL29bsrmmnt_small_blockdim_kernelILj64ELj64ELj2EiiddddEEv20rocsparse_direction_T3_S2_llNS_24const_host_device_scalarIT7_EEPKT2_PKS2_PKT4_PKT5_llS5_PT6_ll16rocsparse_order_21rocsparse_index_base_b,comdat
.Lfunc_end36:
	.size	_ZN9rocsparseL29bsrmmnt_small_blockdim_kernelILj64ELj64ELj2EiiddddEEv20rocsparse_direction_T3_S2_llNS_24const_host_device_scalarIT7_EEPKT2_PKS2_PKT4_PKT5_llS5_PT6_ll16rocsparse_order_21rocsparse_index_base_b, .Lfunc_end36-_ZN9rocsparseL29bsrmmnt_small_blockdim_kernelILj64ELj64ELj2EiiddddEEv20rocsparse_direction_T3_S2_llNS_24const_host_device_scalarIT7_EEPKT2_PKS2_PKT4_PKT5_llS5_PT6_ll16rocsparse_order_21rocsparse_index_base_b
                                        ; -- End function
	.section	.AMDGPU.csdata,"",@progbits
; Kernel info:
; codeLenInByte = 1672
; NumSgprs: 26
; NumVgprs: 41
; ScratchSize: 0
; MemoryBound: 0
; FloatMode: 240
; IeeeMode: 1
; LDSByteSize: 1792 bytes/workgroup (compile time only)
; SGPRBlocks: 3
; VGPRBlocks: 5
; NumSGPRsForWavesPerEU: 26
; NumVGPRsForWavesPerEU: 41
; Occupancy: 16
; WaveLimiterHint : 1
; COMPUTE_PGM_RSRC2:SCRATCH_EN: 0
; COMPUTE_PGM_RSRC2:USER_SGPR: 15
; COMPUTE_PGM_RSRC2:TRAP_HANDLER: 0
; COMPUTE_PGM_RSRC2:TGID_X_EN: 1
; COMPUTE_PGM_RSRC2:TGID_Y_EN: 0
; COMPUTE_PGM_RSRC2:TGID_Z_EN: 0
; COMPUTE_PGM_RSRC2:TIDIG_COMP_CNT: 0
	.section	.text._ZN9rocsparseL29bsrmmnt_small_blockdim_kernelILj64ELj8ELj2EliddddEEv20rocsparse_direction_T3_S2_llNS_24const_host_device_scalarIT7_EEPKT2_PKS2_PKT4_PKT5_llS5_PT6_ll16rocsparse_order_21rocsparse_index_base_b,"axG",@progbits,_ZN9rocsparseL29bsrmmnt_small_blockdim_kernelILj64ELj8ELj2EliddddEEv20rocsparse_direction_T3_S2_llNS_24const_host_device_scalarIT7_EEPKT2_PKS2_PKT4_PKT5_llS5_PT6_ll16rocsparse_order_21rocsparse_index_base_b,comdat
	.globl	_ZN9rocsparseL29bsrmmnt_small_blockdim_kernelILj64ELj8ELj2EliddddEEv20rocsparse_direction_T3_S2_llNS_24const_host_device_scalarIT7_EEPKT2_PKS2_PKT4_PKT5_llS5_PT6_ll16rocsparse_order_21rocsparse_index_base_b ; -- Begin function _ZN9rocsparseL29bsrmmnt_small_blockdim_kernelILj64ELj8ELj2EliddddEEv20rocsparse_direction_T3_S2_llNS_24const_host_device_scalarIT7_EEPKT2_PKS2_PKT4_PKT5_llS5_PT6_ll16rocsparse_order_21rocsparse_index_base_b
	.p2align	8
	.type	_ZN9rocsparseL29bsrmmnt_small_blockdim_kernelILj64ELj8ELj2EliddddEEv20rocsparse_direction_T3_S2_llNS_24const_host_device_scalarIT7_EEPKT2_PKS2_PKT4_PKT5_llS5_PT6_ll16rocsparse_order_21rocsparse_index_base_b,@function
_ZN9rocsparseL29bsrmmnt_small_blockdim_kernelILj64ELj8ELj2EliddddEEv20rocsparse_direction_T3_S2_llNS_24const_host_device_scalarIT7_EEPKT2_PKS2_PKT4_PKT5_llS5_PT6_ll16rocsparse_order_21rocsparse_index_base_b: ; @_ZN9rocsparseL29bsrmmnt_small_blockdim_kernelILj64ELj8ELj2EliddddEEv20rocsparse_direction_T3_S2_llNS_24const_host_device_scalarIT7_EEPKT2_PKS2_PKT4_PKT5_llS5_PT6_ll16rocsparse_order_21rocsparse_index_base_b
; %bb.0:
	s_clause 0x2
	s_load_b128 s[16:19], s[0:1], 0x78
	s_load_b64 s[4:5], s[0:1], 0x20
	s_load_b64 s[2:3], s[0:1], 0x58
	s_waitcnt lgkmcnt(0)
	s_bitcmp1_b32 s18, 0
	v_dual_mov_b32 v1, s4 :: v_dual_mov_b32 v2, s5
	s_cselect_b32 s6, -1, 0
	s_delay_alu instid0(SALU_CYCLE_1)
	s_and_b32 vcc_lo, exec_lo, s6
	s_xor_b32 s6, s6, -1
	s_cbranch_vccnz .LBB37_2
; %bb.1:
	v_dual_mov_b32 v1, s4 :: v_dual_mov_b32 v2, s5
	flat_load_b64 v[1:2], v[1:2]
.LBB37_2:
	v_dual_mov_b32 v4, s3 :: v_dual_mov_b32 v3, s2
	s_and_not1_b32 vcc_lo, exec_lo, s6
	s_cbranch_vccnz .LBB37_4
; %bb.3:
	v_dual_mov_b32 v4, s3 :: v_dual_mov_b32 v3, s2
	flat_load_b64 v[3:4], v[3:4]
.LBB37_4:
	s_waitcnt vmcnt(0) lgkmcnt(0)
	v_cmp_neq_f64_e32 vcc_lo, 0, v[1:2]
	v_cmp_neq_f64_e64 s2, 1.0, v[3:4]
	s_delay_alu instid0(VALU_DEP_1) | instskip(NEXT) | instid1(SALU_CYCLE_1)
	s_or_b32 s2, vcc_lo, s2
	s_and_saveexec_b32 s3, s2
	s_cbranch_execz .LBB37_29
; %bb.5:
	s_clause 0x1
	s_load_b32 s2, s[0:1], 0x94
	s_load_b128 s[20:23], s[0:1], 0x0
	s_waitcnt lgkmcnt(0)
	s_and_b32 s2, s2, 0xffff
	s_delay_alu instid0(SALU_CYCLE_1) | instskip(NEXT) | instid1(VALU_DEP_1)
	v_mad_u64_u32 v[5:6], null, s15, s2, v[0:1]
	v_lshrrev_b32_e32 v6, 4, v5
	s_delay_alu instid0(VALU_DEP_1)
	v_cmp_gt_i32_e32 vcc_lo, s21, v6
	s_and_b32 exec_lo, exec_lo, vcc_lo
	s_cbranch_execz .LBB37_29
; %bb.6:
	s_cmp_lt_i32 s22, 1
	s_cbranch_scc1 .LBB37_29
; %bb.7:
	s_load_b256 s[4:11], s[0:1], 0x28
	v_lshlrev_b32_e32 v6, 3, v6
	s_load_b128 s[12:15], s[0:1], 0x60
	v_lshrrev_b32_e32 v8, 3, v5
	v_and_b32_e32 v23, 7, v0
	v_and_b32_e32 v15, -8, v5
	s_cmp_lg_u32 s16, 1
	s_cselect_b32 s3, -1, 0
	s_cmp_eq_u32 s20, 0
	s_cselect_b32 s2, -1, 0
	s_delay_alu instid0(SALU_CYCLE_1)
	v_cndmask_b32_e64 v16, 0, 1, s2
	s_and_b32 s2, s2, exec_lo
	s_waitcnt lgkmcnt(0)
	global_load_b128 v[9:12], v6, s[4:5]
	s_load_b64 s[4:5], s[0:1], 0x48
	v_mad_u64_u32 v[6:7], null, v8, s14, 0
	v_cmp_neq_f64_e64 s0, 0, v[3:4]
	s_delay_alu instid0(VALU_DEP_2) | instskip(SKIP_3) | instid1(VALU_DEP_3)
	v_mad_u64_u32 v[13:14], null, v8, s15, v[7:8]
	v_bfe_u32 v14, v5, 3, 1
	v_mul_u32_u24_e32 v5, 3, v23
	v_lshrrev_b32_e32 v8, 3, v0
	v_lshlrev_b32_e32 v31, v16, v14
	v_mov_b32_e32 v7, v13
	s_delay_alu instid0(VALU_DEP_4) | instskip(NEXT) | instid1(VALU_DEP_4)
	v_lshlrev_b32_e32 v13, 3, v5
	v_lshl_or_b32 v0, v8, 5, 0x600
	v_mul_u32_u24_e32 v24, 0xc0, v8
	s_delay_alu instid0(VALU_DEP_4) | instskip(NEXT) | instid1(VALU_DEP_4)
	v_lshlrev_b64 v[5:6], 3, v[6:7]
	v_mad_u32_u24 v26, 0xc0, v8, v13
	s_delay_alu instid0(VALU_DEP_4) | instskip(NEXT) | instid1(VALU_DEP_3)
	v_lshl_or_b32 v25, v23, 2, v0
	v_add_co_u32 v27, vcc_lo, s12, v5
	s_delay_alu instid0(VALU_DEP_4) | instskip(SKIP_1) | instid1(VALU_DEP_1)
	v_add_co_ci_u32_e32 v28, vcc_lo, s13, v6, vcc_lo
	v_add_co_u32 v29, s12, s12, v15
	v_add_co_ci_u32_e64 v30, null, s13, 0, s12
	s_mov_b32 s12, 0
	s_cselect_b32 s13, 1, 2
	s_waitcnt vmcnt(0)
	v_sub_co_u32 v5, vcc_lo, v9, s17
	v_subrev_co_ci_u32_e32 v6, vcc_lo, 0, v10, vcc_lo
	v_sub_co_u32 v7, vcc_lo, v11, s17
	v_cmp_lt_i64_e64 s1, v[9:10], v[11:12]
	v_subrev_co_ci_u32_e32 v8, vcc_lo, 0, v12, vcc_lo
	s_branch .LBB37_9
.LBB37_8:                               ;   in Loop: Header=BB37_9 Depth=1
	s_or_b32 exec_lo, exec_lo, s2
	s_add_i32 s12, s12, 8
	s_delay_alu instid0(SALU_CYCLE_1)
	s_cmp_lt_i32 s12, s22
	s_cbranch_scc0 .LBB37_29
.LBB37_9:                               ; =>This Loop Header: Depth=1
                                        ;     Child Loop BB37_12 Depth 2
                                        ;       Child Loop BB37_16 Depth 3
	v_or_b32_e32 v9, s12, v23
	v_mov_b32_e32 v11, 0
	v_mov_b32_e32 v12, 0
	s_delay_alu instid0(VALU_DEP_3)
	v_ashrrev_i32_e32 v10, 31, v9
	s_and_saveexec_b32 s16, s1
	s_cbranch_execz .LBB37_18
; %bb.10:                               ;   in Loop: Header=BB37_9 Depth=1
	s_delay_alu instid0(VALU_DEP_1) | instskip(SKIP_3) | instid1(VALU_DEP_4)
	v_lshlrev_b64 v[11:12], 3, v[9:10]
	v_dual_mov_b32 v13, 0 :: v_dual_mov_b32 v16, v6
	v_dual_mov_b32 v14, 0 :: v_dual_mov_b32 v15, v5
	v_cmp_gt_i32_e32 vcc_lo, s22, v9
	v_add_co_u32 v32, s2, s10, v11
	s_delay_alu instid0(VALU_DEP_1) | instskip(NEXT) | instid1(VALU_DEP_4)
	v_add_co_ci_u32_e64 v33, s2, s11, v12, s2
	v_dual_mov_b32 v11, v13 :: v_dual_mov_b32 v12, v14
	s_mov_b32 s18, 0
	s_branch .LBB37_12
.LBB37_11:                              ;   in Loop: Header=BB37_12 Depth=2
	s_or_b32 exec_lo, exec_lo, s19
	v_add_co_u32 v15, s2, v15, 8
	s_delay_alu instid0(VALU_DEP_1) | instskip(NEXT) | instid1(VALU_DEP_1)
	v_add_co_ci_u32_e64 v16, s2, 0, v16, s2
	v_cmp_ge_i64_e64 s2, v[15:16], v[7:8]
	s_delay_alu instid0(VALU_DEP_1) | instskip(NEXT) | instid1(SALU_CYCLE_1)
	s_or_b32 s18, s2, s18
	s_and_not1_b32 exec_lo, exec_lo, s18
	s_cbranch_execz .LBB37_17
.LBB37_12:                              ;   Parent Loop BB37_9 Depth=1
                                        ; =>  This Loop Header: Depth=2
                                        ;       Child Loop BB37_16 Depth 3
	v_add_co_u32 v21, s2, v15, v23
	v_mov_b32_e32 v18, v14
	v_dual_mov_b32 v20, v14 :: v_dual_mov_b32 v19, v13
	v_add_co_ci_u32_e64 v22, s2, 0, v16, s2
	v_dual_mov_b32 v34, 0 :: v_dual_mov_b32 v17, v13
	s_mov_b32 s19, exec_lo
	s_delay_alu instid0(VALU_DEP_2)
	v_cmpx_lt_i64_e64 v[21:22], v[7:8]
	s_cbranch_execz .LBB37_14
; %bb.13:                               ;   in Loop: Header=BB37_12 Depth=2
	v_lshlrev_b64 v[17:18], 2, v[21:22]
	s_delay_alu instid0(VALU_DEP_1) | instskip(NEXT) | instid1(VALU_DEP_2)
	v_or_b32_e32 v20, 0, v18
	v_or_b32_e32 v19, v17, v31
	v_add_co_u32 v17, s2, s6, v17
	s_delay_alu instid0(VALU_DEP_1) | instskip(NEXT) | instid1(VALU_DEP_4)
	v_add_co_ci_u32_e64 v18, s2, s7, v18, s2
	v_or_b32_e32 v22, 0, v20
	s_delay_alu instid0(VALU_DEP_4) | instskip(SKIP_4) | instid1(VALU_DEP_1)
	v_or_b32_e32 v21, s13, v19
	v_lshlrev_b64 v[19:20], 3, v[19:20]
	global_load_b32 v34, v[17:18], off
	v_lshlrev_b64 v[17:18], 3, v[21:22]
	v_add_co_u32 v19, s2, s8, v19
	v_add_co_ci_u32_e64 v20, s2, s9, v20, s2
	s_delay_alu instid0(VALU_DEP_3) | instskip(NEXT) | instid1(VALU_DEP_1)
	v_add_co_u32 v21, s2, s8, v17
	v_add_co_ci_u32_e64 v22, s2, s9, v18, s2
	s_clause 0x1
	global_load_b64 v[17:18], v[19:20], off
	global_load_b64 v[19:20], v[21:22], off
	s_waitcnt vmcnt(2)
	v_subrev_nc_u32_e32 v21, s17, v34
	s_delay_alu instid0(VALU_DEP_1)
	v_lshlrev_b32_e32 v34, 1, v21
.LBB37_14:                              ;   in Loop: Header=BB37_12 Depth=2
	s_or_b32 exec_lo, exec_lo, s19
	ds_store_b32 v25, v34
	s_waitcnt vmcnt(0)
	ds_store_2addr_b64 v26, v[17:18], v[19:20] offset1:1
	s_waitcnt lgkmcnt(0)
	s_waitcnt_vscnt null, 0x0
	s_barrier
	buffer_gl0_inv
	s_and_saveexec_b32 s19, vcc_lo
	s_cbranch_execz .LBB37_11
; %bb.15:                               ;   in Loop: Header=BB37_12 Depth=2
	v_mov_b32_e32 v17, v24
	s_mov_b32 s20, 0
.LBB37_16:                              ;   Parent Loop BB37_9 Depth=1
                                        ;     Parent Loop BB37_12 Depth=2
                                        ; =>    This Inner Loop Header: Depth=3
	s_delay_alu instid0(SALU_CYCLE_1) | instskip(SKIP_1) | instid1(SALU_CYCLE_1)
	v_add_nc_u32_e32 v18, s20, v0
	s_add_i32 s20, s20, 8
	s_cmp_lg_u32 s20, 32
	ds_load_b64 v[18:19], v18
	s_waitcnt lgkmcnt(0)
	v_ashrrev_i32_e32 v22, 31, v18
	v_mul_lo_u32 v34, v18, s5
	v_mad_u64_u32 v[20:21], null, v18, s4, 0
	v_add_nc_u32_e32 v18, 1, v18
	s_delay_alu instid0(VALU_DEP_4) | instskip(NEXT) | instid1(VALU_DEP_1)
	v_mul_lo_u32 v22, v22, s4
	v_add3_u32 v21, v21, v34, v22
	s_delay_alu instid0(VALU_DEP_3) | instskip(SKIP_1) | instid1(VALU_DEP_3)
	v_ashrrev_i32_e32 v22, 31, v18
	v_mul_lo_u32 v34, v18, s5
	v_lshlrev_b64 v[20:21], 3, v[20:21]
	s_delay_alu instid0(VALU_DEP_1) | instskip(NEXT) | instid1(VALU_DEP_1)
	v_add_co_u32 v20, s2, v32, v20
	v_add_co_ci_u32_e64 v21, s2, v33, v21, s2
	global_load_b64 v[38:39], v[20:21], off
	v_mad_u64_u32 v[20:21], null, v18, s4, 0
	v_mul_lo_u32 v18, v22, s4
	v_mul_lo_u32 v22, v19, s5
	s_delay_alu instid0(VALU_DEP_2) | instskip(SKIP_1) | instid1(VALU_DEP_2)
	v_add3_u32 v21, v21, v34, v18
	v_ashrrev_i32_e32 v18, 31, v19
	v_lshlrev_b64 v[20:21], 3, v[20:21]
	s_delay_alu instid0(VALU_DEP_2) | instskip(NEXT) | instid1(VALU_DEP_2)
	v_mul_lo_u32 v18, v18, s4
	v_add_co_u32 v20, s2, v32, v20
	s_delay_alu instid0(VALU_DEP_1) | instskip(SKIP_2) | instid1(VALU_DEP_1)
	v_add_co_ci_u32_e64 v21, s2, v33, v21, s2
	global_load_b64 v[40:41], v[20:21], off
	v_mad_u64_u32 v[20:21], null, v19, s4, 0
	v_add3_u32 v21, v21, v22, v18
	s_delay_alu instid0(VALU_DEP_1) | instskip(NEXT) | instid1(VALU_DEP_1)
	v_lshlrev_b64 v[20:21], 3, v[20:21]
	v_add_co_u32 v20, s2, v32, v20
	s_delay_alu instid0(VALU_DEP_1) | instskip(SKIP_2) | instid1(VALU_DEP_1)
	v_add_co_ci_u32_e64 v21, s2, v33, v21, s2
	global_load_b64 v[42:43], v[20:21], off
	v_add_nc_u32_e32 v20, 1, v19
	v_ashrrev_i32_e32 v21, 31, v20
	v_mul_lo_u32 v22, v20, s5
	v_mad_u64_u32 v[18:19], null, v20, s4, 0
	s_delay_alu instid0(VALU_DEP_3) | instskip(NEXT) | instid1(VALU_DEP_1)
	v_mul_lo_u32 v20, v21, s4
	v_add3_u32 v19, v19, v22, v20
	s_delay_alu instid0(VALU_DEP_1) | instskip(NEXT) | instid1(VALU_DEP_1)
	v_lshlrev_b64 v[18:19], 3, v[18:19]
	v_add_co_u32 v18, s2, v32, v18
	s_delay_alu instid0(VALU_DEP_1)
	v_add_co_ci_u32_e64 v19, s2, v33, v19, s2
	global_load_b64 v[44:45], v[18:19], off
	ds_load_b128 v[18:21], v17
	ds_load_2addr_b64 v[34:37], v17 offset0:3 offset1:4
	v_add_nc_u32_e32 v17, 48, v17
	s_waitcnt vmcnt(3) lgkmcnt(1)
	v_fma_f64 v[11:12], v[18:19], v[38:39], v[11:12]
	s_waitcnt vmcnt(2)
	s_delay_alu instid0(VALU_DEP_1) | instskip(SKIP_1) | instid1(VALU_DEP_1)
	v_fma_f64 v[11:12], v[20:21], v[40:41], v[11:12]
	s_waitcnt vmcnt(1) lgkmcnt(0)
	v_fma_f64 v[11:12], v[34:35], v[42:43], v[11:12]
	s_waitcnt vmcnt(0)
	s_delay_alu instid0(VALU_DEP_1)
	v_fma_f64 v[11:12], v[36:37], v[44:45], v[11:12]
	s_cbranch_scc1 .LBB37_16
	s_branch .LBB37_11
.LBB37_17:                              ;   in Loop: Header=BB37_9 Depth=1
	s_or_b32 exec_lo, exec_lo, s18
.LBB37_18:                              ;   in Loop: Header=BB37_9 Depth=1
	s_delay_alu instid0(SALU_CYCLE_1) | instskip(NEXT) | instid1(SALU_CYCLE_1)
	s_or_b32 exec_lo, exec_lo, s16
	s_mov_b32 s2, exec_lo
	v_cmpx_gt_i32_e64 s22, v9
	s_cbranch_execz .LBB37_8
; %bb.19:                               ;   in Loop: Header=BB37_9 Depth=1
	s_and_saveexec_b32 s16, s0
	s_delay_alu instid0(SALU_CYCLE_1)
	s_xor_b32 s16, exec_lo, s16
	s_cbranch_execz .LBB37_24
; %bb.20:                               ;   in Loop: Header=BB37_9 Depth=1
	s_and_b32 vcc_lo, exec_lo, s3
	s_mov_b32 s18, -1
	s_cbranch_vccz .LBB37_22
; %bb.21:                               ;   in Loop: Header=BB37_9 Depth=1
	v_lshlrev_b64 v[13:14], 3, v[9:10]
	s_delay_alu instid0(VALU_DEP_4) | instskip(SKIP_1) | instid1(VALU_DEP_2)
	v_mul_f64 v[17:18], v[1:2], v[11:12]
	s_mov_b32 s18, 0
	v_add_co_u32 v13, vcc_lo, v27, v13
	s_delay_alu instid0(VALU_DEP_3)
	v_add_co_ci_u32_e32 v14, vcc_lo, v28, v14, vcc_lo
	global_load_b64 v[15:16], v[13:14], off
	s_waitcnt vmcnt(0)
	v_fma_f64 v[15:16], v[3:4], v[15:16], v[17:18]
	global_store_b64 v[13:14], v[15:16], off
.LBB37_22:                              ;   in Loop: Header=BB37_9 Depth=1
	s_and_not1_b32 vcc_lo, exec_lo, s18
	s_cbranch_vccnz .LBB37_24
; %bb.23:                               ;   in Loop: Header=BB37_9 Depth=1
	v_mul_lo_u32 v10, v10, s14
	v_mul_lo_u32 v15, v9, s15
	v_mad_u64_u32 v[13:14], null, v9, s14, 0
	v_mul_f64 v[11:12], v[1:2], v[11:12]
	s_delay_alu instid0(VALU_DEP_2) | instskip(NEXT) | instid1(VALU_DEP_1)
	v_add3_u32 v14, v14, v15, v10
	v_lshlrev_b64 v[9:10], 3, v[13:14]
	s_delay_alu instid0(VALU_DEP_1) | instskip(NEXT) | instid1(VALU_DEP_2)
	v_add_co_u32 v9, vcc_lo, v29, v9
	v_add_co_ci_u32_e32 v10, vcc_lo, v30, v10, vcc_lo
	global_load_b64 v[13:14], v[9:10], off
	s_waitcnt vmcnt(0)
	v_fma_f64 v[11:12], v[3:4], v[13:14], v[11:12]
	global_store_b64 v[9:10], v[11:12], off
                                        ; implicit-def: $vgpr11_vgpr12
                                        ; implicit-def: $vgpr9
.LBB37_24:                              ;   in Loop: Header=BB37_9 Depth=1
	s_and_not1_saveexec_b32 s16, s16
	s_cbranch_execz .LBB37_8
; %bb.25:                               ;   in Loop: Header=BB37_9 Depth=1
	s_delay_alu instid0(VALU_DEP_3)
	v_mul_f64 v[11:12], v[1:2], v[11:12]
	s_and_b32 vcc_lo, exec_lo, s3
	s_mov_b32 s16, -1
	s_cbranch_vccz .LBB37_27
; %bb.26:                               ;   in Loop: Header=BB37_9 Depth=1
	v_lshlrev_b64 v[13:14], 3, v[9:10]
	s_mov_b32 s16, 0
	s_delay_alu instid0(VALU_DEP_1) | instskip(NEXT) | instid1(VALU_DEP_2)
	v_add_co_u32 v13, vcc_lo, v27, v13
	v_add_co_ci_u32_e32 v14, vcc_lo, v28, v14, vcc_lo
	global_store_b64 v[13:14], v[11:12], off
.LBB37_27:                              ;   in Loop: Header=BB37_9 Depth=1
	s_and_not1_b32 vcc_lo, exec_lo, s16
	s_cbranch_vccnz .LBB37_8
; %bb.28:                               ;   in Loop: Header=BB37_9 Depth=1
	v_mul_lo_u32 v10, v10, s14
	v_mul_lo_u32 v15, v9, s15
	v_mad_u64_u32 v[13:14], null, v9, s14, 0
	s_delay_alu instid0(VALU_DEP_1) | instskip(NEXT) | instid1(VALU_DEP_1)
	v_add3_u32 v14, v14, v15, v10
	v_lshlrev_b64 v[9:10], 3, v[13:14]
	s_delay_alu instid0(VALU_DEP_1) | instskip(NEXT) | instid1(VALU_DEP_2)
	v_add_co_u32 v9, vcc_lo, v29, v9
	v_add_co_ci_u32_e32 v10, vcc_lo, v30, v10, vcc_lo
	global_store_b64 v[9:10], v[11:12], off
	s_branch .LBB37_8
.LBB37_29:
	s_nop 0
	s_sendmsg sendmsg(MSG_DEALLOC_VGPRS)
	s_endpgm
	.section	.rodata,"a",@progbits
	.p2align	6, 0x0
	.amdhsa_kernel _ZN9rocsparseL29bsrmmnt_small_blockdim_kernelILj64ELj8ELj2EliddddEEv20rocsparse_direction_T3_S2_llNS_24const_host_device_scalarIT7_EEPKT2_PKS2_PKT4_PKT5_llS5_PT6_ll16rocsparse_order_21rocsparse_index_base_b
		.amdhsa_group_segment_fixed_size 1792
		.amdhsa_private_segment_fixed_size 0
		.amdhsa_kernarg_size 392
		.amdhsa_user_sgpr_count 15
		.amdhsa_user_sgpr_dispatch_ptr 0
		.amdhsa_user_sgpr_queue_ptr 0
		.amdhsa_user_sgpr_kernarg_segment_ptr 1
		.amdhsa_user_sgpr_dispatch_id 0
		.amdhsa_user_sgpr_private_segment_size 0
		.amdhsa_wavefront_size32 1
		.amdhsa_uses_dynamic_stack 0
		.amdhsa_enable_private_segment 0
		.amdhsa_system_sgpr_workgroup_id_x 1
		.amdhsa_system_sgpr_workgroup_id_y 0
		.amdhsa_system_sgpr_workgroup_id_z 0
		.amdhsa_system_sgpr_workgroup_info 0
		.amdhsa_system_vgpr_workitem_id 0
		.amdhsa_next_free_vgpr 46
		.amdhsa_next_free_sgpr 24
		.amdhsa_reserve_vcc 1
		.amdhsa_float_round_mode_32 0
		.amdhsa_float_round_mode_16_64 0
		.amdhsa_float_denorm_mode_32 3
		.amdhsa_float_denorm_mode_16_64 3
		.amdhsa_dx10_clamp 1
		.amdhsa_ieee_mode 1
		.amdhsa_fp16_overflow 0
		.amdhsa_workgroup_processor_mode 1
		.amdhsa_memory_ordered 1
		.amdhsa_forward_progress 0
		.amdhsa_shared_vgpr_count 0
		.amdhsa_exception_fp_ieee_invalid_op 0
		.amdhsa_exception_fp_denorm_src 0
		.amdhsa_exception_fp_ieee_div_zero 0
		.amdhsa_exception_fp_ieee_overflow 0
		.amdhsa_exception_fp_ieee_underflow 0
		.amdhsa_exception_fp_ieee_inexact 0
		.amdhsa_exception_int_div_zero 0
	.end_amdhsa_kernel
	.section	.text._ZN9rocsparseL29bsrmmnt_small_blockdim_kernelILj64ELj8ELj2EliddddEEv20rocsparse_direction_T3_S2_llNS_24const_host_device_scalarIT7_EEPKT2_PKS2_PKT4_PKT5_llS5_PT6_ll16rocsparse_order_21rocsparse_index_base_b,"axG",@progbits,_ZN9rocsparseL29bsrmmnt_small_blockdim_kernelILj64ELj8ELj2EliddddEEv20rocsparse_direction_T3_S2_llNS_24const_host_device_scalarIT7_EEPKT2_PKS2_PKT4_PKT5_llS5_PT6_ll16rocsparse_order_21rocsparse_index_base_b,comdat
.Lfunc_end37:
	.size	_ZN9rocsparseL29bsrmmnt_small_blockdim_kernelILj64ELj8ELj2EliddddEEv20rocsparse_direction_T3_S2_llNS_24const_host_device_scalarIT7_EEPKT2_PKS2_PKT4_PKT5_llS5_PT6_ll16rocsparse_order_21rocsparse_index_base_b, .Lfunc_end37-_ZN9rocsparseL29bsrmmnt_small_blockdim_kernelILj64ELj8ELj2EliddddEEv20rocsparse_direction_T3_S2_llNS_24const_host_device_scalarIT7_EEPKT2_PKS2_PKT4_PKT5_llS5_PT6_ll16rocsparse_order_21rocsparse_index_base_b
                                        ; -- End function
	.section	.AMDGPU.csdata,"",@progbits
; Kernel info:
; codeLenInByte = 1748
; NumSgprs: 26
; NumVgprs: 46
; ScratchSize: 0
; MemoryBound: 0
; FloatMode: 240
; IeeeMode: 1
; LDSByteSize: 1792 bytes/workgroup (compile time only)
; SGPRBlocks: 3
; VGPRBlocks: 5
; NumSGPRsForWavesPerEU: 26
; NumVGPRsForWavesPerEU: 46
; Occupancy: 16
; WaveLimiterHint : 1
; COMPUTE_PGM_RSRC2:SCRATCH_EN: 0
; COMPUTE_PGM_RSRC2:USER_SGPR: 15
; COMPUTE_PGM_RSRC2:TRAP_HANDLER: 0
; COMPUTE_PGM_RSRC2:TGID_X_EN: 1
; COMPUTE_PGM_RSRC2:TGID_Y_EN: 0
; COMPUTE_PGM_RSRC2:TGID_Z_EN: 0
; COMPUTE_PGM_RSRC2:TIDIG_COMP_CNT: 0
	.section	.text._ZN9rocsparseL29bsrmmnt_small_blockdim_kernelILj64ELj16ELj2EliddddEEv20rocsparse_direction_T3_S2_llNS_24const_host_device_scalarIT7_EEPKT2_PKS2_PKT4_PKT5_llS5_PT6_ll16rocsparse_order_21rocsparse_index_base_b,"axG",@progbits,_ZN9rocsparseL29bsrmmnt_small_blockdim_kernelILj64ELj16ELj2EliddddEEv20rocsparse_direction_T3_S2_llNS_24const_host_device_scalarIT7_EEPKT2_PKS2_PKT4_PKT5_llS5_PT6_ll16rocsparse_order_21rocsparse_index_base_b,comdat
	.globl	_ZN9rocsparseL29bsrmmnt_small_blockdim_kernelILj64ELj16ELj2EliddddEEv20rocsparse_direction_T3_S2_llNS_24const_host_device_scalarIT7_EEPKT2_PKS2_PKT4_PKT5_llS5_PT6_ll16rocsparse_order_21rocsparse_index_base_b ; -- Begin function _ZN9rocsparseL29bsrmmnt_small_blockdim_kernelILj64ELj16ELj2EliddddEEv20rocsparse_direction_T3_S2_llNS_24const_host_device_scalarIT7_EEPKT2_PKS2_PKT4_PKT5_llS5_PT6_ll16rocsparse_order_21rocsparse_index_base_b
	.p2align	8
	.type	_ZN9rocsparseL29bsrmmnt_small_blockdim_kernelILj64ELj16ELj2EliddddEEv20rocsparse_direction_T3_S2_llNS_24const_host_device_scalarIT7_EEPKT2_PKS2_PKT4_PKT5_llS5_PT6_ll16rocsparse_order_21rocsparse_index_base_b,@function
_ZN9rocsparseL29bsrmmnt_small_blockdim_kernelILj64ELj16ELj2EliddddEEv20rocsparse_direction_T3_S2_llNS_24const_host_device_scalarIT7_EEPKT2_PKS2_PKT4_PKT5_llS5_PT6_ll16rocsparse_order_21rocsparse_index_base_b: ; @_ZN9rocsparseL29bsrmmnt_small_blockdim_kernelILj64ELj16ELj2EliddddEEv20rocsparse_direction_T3_S2_llNS_24const_host_device_scalarIT7_EEPKT2_PKS2_PKT4_PKT5_llS5_PT6_ll16rocsparse_order_21rocsparse_index_base_b
; %bb.0:
	s_clause 0x2
	s_load_b128 s[16:19], s[0:1], 0x78
	s_load_b64 s[4:5], s[0:1], 0x20
	s_load_b64 s[2:3], s[0:1], 0x58
	s_waitcnt lgkmcnt(0)
	s_bitcmp1_b32 s18, 0
	v_dual_mov_b32 v1, s4 :: v_dual_mov_b32 v2, s5
	s_cselect_b32 s6, -1, 0
	s_delay_alu instid0(SALU_CYCLE_1)
	s_and_b32 vcc_lo, exec_lo, s6
	s_xor_b32 s6, s6, -1
	s_cbranch_vccnz .LBB38_2
; %bb.1:
	v_dual_mov_b32 v1, s4 :: v_dual_mov_b32 v2, s5
	flat_load_b64 v[1:2], v[1:2]
.LBB38_2:
	v_dual_mov_b32 v4, s3 :: v_dual_mov_b32 v3, s2
	s_and_not1_b32 vcc_lo, exec_lo, s6
	s_cbranch_vccnz .LBB38_4
; %bb.3:
	v_dual_mov_b32 v4, s3 :: v_dual_mov_b32 v3, s2
	flat_load_b64 v[3:4], v[3:4]
.LBB38_4:
	s_waitcnt vmcnt(0) lgkmcnt(0)
	v_cmp_neq_f64_e32 vcc_lo, 0, v[1:2]
	v_cmp_neq_f64_e64 s2, 1.0, v[3:4]
	s_delay_alu instid0(VALU_DEP_1) | instskip(NEXT) | instid1(SALU_CYCLE_1)
	s_or_b32 s2, vcc_lo, s2
	s_and_saveexec_b32 s3, s2
	s_cbranch_execz .LBB38_29
; %bb.5:
	s_clause 0x1
	s_load_b32 s2, s[0:1], 0x94
	s_load_b128 s[20:23], s[0:1], 0x0
	s_waitcnt lgkmcnt(0)
	s_and_b32 s2, s2, 0xffff
	s_delay_alu instid0(SALU_CYCLE_1) | instskip(NEXT) | instid1(VALU_DEP_1)
	v_mad_u64_u32 v[5:6], null, s15, s2, v[0:1]
	v_lshrrev_b32_e32 v6, 5, v5
	s_delay_alu instid0(VALU_DEP_1)
	v_cmp_gt_i32_e32 vcc_lo, s21, v6
	s_and_b32 exec_lo, exec_lo, vcc_lo
	s_cbranch_execz .LBB38_29
; %bb.6:
	s_cmp_lt_i32 s22, 1
	s_cbranch_scc1 .LBB38_29
; %bb.7:
	s_load_b256 s[4:11], s[0:1], 0x28
	v_lshlrev_b32_e32 v6, 3, v6
	s_load_b128 s[12:15], s[0:1], 0x60
	v_lshrrev_b32_e32 v8, 4, v5
	v_and_b32_e32 v23, 15, v0
	v_bfe_u32 v15, v5, 4, 1
	s_cmp_lg_u32 s16, 1
	s_cselect_b32 s3, -1, 0
	s_delay_alu instid0(VALU_DEP_2) | instskip(SKIP_3) | instid1(VALU_DEP_2)
	v_mul_u32_u24_e32 v5, 3, v23
	s_cmp_eq_u32 s20, 0
	v_lshlrev_b32_e32 v17, 3, v8
	s_cselect_b32 s2, -1, 0
	v_lshlrev_b32_e32 v16, 3, v5
	s_waitcnt lgkmcnt(0)
	global_load_b128 v[9:12], v6, s[4:5]
	s_load_b64 s[4:5], s[0:1], 0x48
	v_mad_u64_u32 v[6:7], null, v8, s14, 0
	v_cmp_neq_f64_e64 s0, 0, v[3:4]
	s_delay_alu instid0(VALU_DEP_2) | instskip(SKIP_1) | instid1(VALU_DEP_1)
	v_mad_u64_u32 v[13:14], null, v8, s15, v[7:8]
	v_lshrrev_b32_e32 v14, 4, v0
	v_lshl_or_b32 v0, v14, 6, 0x600
	s_delay_alu instid0(VALU_DEP_3)
	v_mov_b32_e32 v7, v13
	v_cndmask_b32_e64 v13, 0, 1, s2
	v_mul_u32_u24_e32 v24, 0x180, v14
	v_mad_u32_u24 v26, 0x180, v14, v16
	v_lshl_or_b32 v25, v23, 2, v0
	v_lshlrev_b64 v[5:6], 3, v[6:7]
	v_lshlrev_b32_e32 v31, v13, v15
	s_and_b32 s2, s2, exec_lo
	s_delay_alu instid0(VALU_DEP_2) | instskip(NEXT) | instid1(VALU_DEP_3)
	v_add_co_u32 v27, vcc_lo, s12, v5
	v_add_co_ci_u32_e32 v28, vcc_lo, s13, v6, vcc_lo
	v_add_co_u32 v29, s12, s12, v17
	s_delay_alu instid0(VALU_DEP_1)
	v_add_co_ci_u32_e64 v30, null, s13, 0, s12
	s_mov_b32 s12, 0
	s_cselect_b32 s13, 1, 2
	s_waitcnt vmcnt(0)
	v_sub_co_u32 v5, vcc_lo, v9, s17
	v_subrev_co_ci_u32_e32 v6, vcc_lo, 0, v10, vcc_lo
	v_sub_co_u32 v7, vcc_lo, v11, s17
	v_cmp_lt_i64_e64 s1, v[9:10], v[11:12]
	v_subrev_co_ci_u32_e32 v8, vcc_lo, 0, v12, vcc_lo
	s_branch .LBB38_9
.LBB38_8:                               ;   in Loop: Header=BB38_9 Depth=1
	s_or_b32 exec_lo, exec_lo, s2
	s_add_i32 s12, s12, 16
	s_delay_alu instid0(SALU_CYCLE_1)
	s_cmp_lt_i32 s12, s22
	s_cbranch_scc0 .LBB38_29
.LBB38_9:                               ; =>This Loop Header: Depth=1
                                        ;     Child Loop BB38_12 Depth 2
                                        ;       Child Loop BB38_16 Depth 3
	v_or_b32_e32 v9, s12, v23
	v_mov_b32_e32 v11, 0
	v_mov_b32_e32 v12, 0
	s_delay_alu instid0(VALU_DEP_3)
	v_ashrrev_i32_e32 v10, 31, v9
	s_and_saveexec_b32 s16, s1
	s_cbranch_execz .LBB38_18
; %bb.10:                               ;   in Loop: Header=BB38_9 Depth=1
	s_delay_alu instid0(VALU_DEP_1) | instskip(SKIP_3) | instid1(VALU_DEP_4)
	v_lshlrev_b64 v[11:12], 3, v[9:10]
	v_dual_mov_b32 v13, 0 :: v_dual_mov_b32 v16, v6
	v_dual_mov_b32 v14, 0 :: v_dual_mov_b32 v15, v5
	v_cmp_gt_i32_e32 vcc_lo, s22, v9
	v_add_co_u32 v32, s2, s10, v11
	s_delay_alu instid0(VALU_DEP_1) | instskip(NEXT) | instid1(VALU_DEP_4)
	v_add_co_ci_u32_e64 v33, s2, s11, v12, s2
	v_dual_mov_b32 v11, v13 :: v_dual_mov_b32 v12, v14
	s_mov_b32 s18, 0
	s_branch .LBB38_12
.LBB38_11:                              ;   in Loop: Header=BB38_12 Depth=2
	s_or_b32 exec_lo, exec_lo, s19
	v_add_co_u32 v15, s2, v15, 16
	s_delay_alu instid0(VALU_DEP_1) | instskip(NEXT) | instid1(VALU_DEP_1)
	v_add_co_ci_u32_e64 v16, s2, 0, v16, s2
	v_cmp_ge_i64_e64 s2, v[15:16], v[7:8]
	s_delay_alu instid0(VALU_DEP_1) | instskip(NEXT) | instid1(SALU_CYCLE_1)
	s_or_b32 s18, s2, s18
	s_and_not1_b32 exec_lo, exec_lo, s18
	s_cbranch_execz .LBB38_17
.LBB38_12:                              ;   Parent Loop BB38_9 Depth=1
                                        ; =>  This Loop Header: Depth=2
                                        ;       Child Loop BB38_16 Depth 3
	v_add_co_u32 v21, s2, v15, v23
	v_mov_b32_e32 v18, v14
	v_dual_mov_b32 v20, v14 :: v_dual_mov_b32 v19, v13
	v_add_co_ci_u32_e64 v22, s2, 0, v16, s2
	v_dual_mov_b32 v34, 0 :: v_dual_mov_b32 v17, v13
	s_mov_b32 s19, exec_lo
	s_delay_alu instid0(VALU_DEP_2)
	v_cmpx_lt_i64_e64 v[21:22], v[7:8]
	s_cbranch_execz .LBB38_14
; %bb.13:                               ;   in Loop: Header=BB38_12 Depth=2
	v_lshlrev_b64 v[17:18], 2, v[21:22]
	s_delay_alu instid0(VALU_DEP_1) | instskip(NEXT) | instid1(VALU_DEP_2)
	v_or_b32_e32 v20, 0, v18
	v_or_b32_e32 v19, v17, v31
	v_add_co_u32 v17, s2, s6, v17
	s_delay_alu instid0(VALU_DEP_1) | instskip(NEXT) | instid1(VALU_DEP_4)
	v_add_co_ci_u32_e64 v18, s2, s7, v18, s2
	v_or_b32_e32 v22, 0, v20
	s_delay_alu instid0(VALU_DEP_4) | instskip(SKIP_4) | instid1(VALU_DEP_1)
	v_or_b32_e32 v21, s13, v19
	v_lshlrev_b64 v[19:20], 3, v[19:20]
	global_load_b32 v34, v[17:18], off
	v_lshlrev_b64 v[17:18], 3, v[21:22]
	v_add_co_u32 v19, s2, s8, v19
	v_add_co_ci_u32_e64 v20, s2, s9, v20, s2
	s_delay_alu instid0(VALU_DEP_3) | instskip(NEXT) | instid1(VALU_DEP_1)
	v_add_co_u32 v21, s2, s8, v17
	v_add_co_ci_u32_e64 v22, s2, s9, v18, s2
	s_clause 0x1
	global_load_b64 v[17:18], v[19:20], off
	global_load_b64 v[19:20], v[21:22], off
	s_waitcnt vmcnt(2)
	v_subrev_nc_u32_e32 v21, s17, v34
	s_delay_alu instid0(VALU_DEP_1)
	v_lshlrev_b32_e32 v34, 1, v21
.LBB38_14:                              ;   in Loop: Header=BB38_12 Depth=2
	s_or_b32 exec_lo, exec_lo, s19
	ds_store_b32 v25, v34
	s_waitcnt vmcnt(0)
	ds_store_2addr_b64 v26, v[17:18], v[19:20] offset1:1
	s_waitcnt lgkmcnt(0)
	s_waitcnt_vscnt null, 0x0
	s_barrier
	buffer_gl0_inv
	s_and_saveexec_b32 s19, vcc_lo
	s_cbranch_execz .LBB38_11
; %bb.15:                               ;   in Loop: Header=BB38_12 Depth=2
	v_mov_b32_e32 v17, v24
	s_mov_b32 s20, 0
.LBB38_16:                              ;   Parent Loop BB38_9 Depth=1
                                        ;     Parent Loop BB38_12 Depth=2
                                        ; =>    This Inner Loop Header: Depth=3
	s_delay_alu instid0(SALU_CYCLE_1) | instskip(SKIP_1) | instid1(SALU_CYCLE_1)
	v_add_nc_u32_e32 v18, s20, v0
	s_add_i32 s20, s20, 8
	s_cmp_lg_u32 s20, 64
	ds_load_b64 v[18:19], v18
	s_waitcnt lgkmcnt(0)
	v_ashrrev_i32_e32 v22, 31, v18
	v_mul_lo_u32 v34, v18, s5
	v_mad_u64_u32 v[20:21], null, v18, s4, 0
	v_add_nc_u32_e32 v18, 1, v18
	s_delay_alu instid0(VALU_DEP_4) | instskip(NEXT) | instid1(VALU_DEP_1)
	v_mul_lo_u32 v22, v22, s4
	v_add3_u32 v21, v21, v34, v22
	s_delay_alu instid0(VALU_DEP_3) | instskip(SKIP_1) | instid1(VALU_DEP_3)
	v_ashrrev_i32_e32 v22, 31, v18
	v_mul_lo_u32 v34, v18, s5
	v_lshlrev_b64 v[20:21], 3, v[20:21]
	s_delay_alu instid0(VALU_DEP_1) | instskip(NEXT) | instid1(VALU_DEP_1)
	v_add_co_u32 v20, s2, v32, v20
	v_add_co_ci_u32_e64 v21, s2, v33, v21, s2
	global_load_b64 v[38:39], v[20:21], off
	v_mad_u64_u32 v[20:21], null, v18, s4, 0
	v_mul_lo_u32 v18, v22, s4
	v_mul_lo_u32 v22, v19, s5
	s_delay_alu instid0(VALU_DEP_2) | instskip(SKIP_1) | instid1(VALU_DEP_2)
	v_add3_u32 v21, v21, v34, v18
	v_ashrrev_i32_e32 v18, 31, v19
	v_lshlrev_b64 v[20:21], 3, v[20:21]
	s_delay_alu instid0(VALU_DEP_2) | instskip(NEXT) | instid1(VALU_DEP_2)
	v_mul_lo_u32 v18, v18, s4
	v_add_co_u32 v20, s2, v32, v20
	s_delay_alu instid0(VALU_DEP_1) | instskip(SKIP_2) | instid1(VALU_DEP_1)
	v_add_co_ci_u32_e64 v21, s2, v33, v21, s2
	global_load_b64 v[40:41], v[20:21], off
	v_mad_u64_u32 v[20:21], null, v19, s4, 0
	v_add3_u32 v21, v21, v22, v18
	s_delay_alu instid0(VALU_DEP_1) | instskip(NEXT) | instid1(VALU_DEP_1)
	v_lshlrev_b64 v[20:21], 3, v[20:21]
	v_add_co_u32 v20, s2, v32, v20
	s_delay_alu instid0(VALU_DEP_1) | instskip(SKIP_2) | instid1(VALU_DEP_1)
	v_add_co_ci_u32_e64 v21, s2, v33, v21, s2
	global_load_b64 v[42:43], v[20:21], off
	v_add_nc_u32_e32 v20, 1, v19
	v_ashrrev_i32_e32 v21, 31, v20
	v_mul_lo_u32 v22, v20, s5
	v_mad_u64_u32 v[18:19], null, v20, s4, 0
	s_delay_alu instid0(VALU_DEP_3) | instskip(NEXT) | instid1(VALU_DEP_1)
	v_mul_lo_u32 v20, v21, s4
	v_add3_u32 v19, v19, v22, v20
	s_delay_alu instid0(VALU_DEP_1) | instskip(NEXT) | instid1(VALU_DEP_1)
	v_lshlrev_b64 v[18:19], 3, v[18:19]
	v_add_co_u32 v18, s2, v32, v18
	s_delay_alu instid0(VALU_DEP_1)
	v_add_co_ci_u32_e64 v19, s2, v33, v19, s2
	global_load_b64 v[44:45], v[18:19], off
	ds_load_b128 v[18:21], v17
	ds_load_2addr_b64 v[34:37], v17 offset0:3 offset1:4
	v_add_nc_u32_e32 v17, 48, v17
	s_waitcnt vmcnt(3) lgkmcnt(1)
	v_fma_f64 v[11:12], v[18:19], v[38:39], v[11:12]
	s_waitcnt vmcnt(2)
	s_delay_alu instid0(VALU_DEP_1) | instskip(SKIP_1) | instid1(VALU_DEP_1)
	v_fma_f64 v[11:12], v[20:21], v[40:41], v[11:12]
	s_waitcnt vmcnt(1) lgkmcnt(0)
	v_fma_f64 v[11:12], v[34:35], v[42:43], v[11:12]
	s_waitcnt vmcnt(0)
	s_delay_alu instid0(VALU_DEP_1)
	v_fma_f64 v[11:12], v[36:37], v[44:45], v[11:12]
	s_cbranch_scc1 .LBB38_16
	s_branch .LBB38_11
.LBB38_17:                              ;   in Loop: Header=BB38_9 Depth=1
	s_or_b32 exec_lo, exec_lo, s18
.LBB38_18:                              ;   in Loop: Header=BB38_9 Depth=1
	s_delay_alu instid0(SALU_CYCLE_1) | instskip(NEXT) | instid1(SALU_CYCLE_1)
	s_or_b32 exec_lo, exec_lo, s16
	s_mov_b32 s2, exec_lo
	v_cmpx_gt_i32_e64 s22, v9
	s_cbranch_execz .LBB38_8
; %bb.19:                               ;   in Loop: Header=BB38_9 Depth=1
	s_and_saveexec_b32 s16, s0
	s_delay_alu instid0(SALU_CYCLE_1)
	s_xor_b32 s16, exec_lo, s16
	s_cbranch_execz .LBB38_24
; %bb.20:                               ;   in Loop: Header=BB38_9 Depth=1
	s_and_b32 vcc_lo, exec_lo, s3
	s_mov_b32 s18, -1
	s_cbranch_vccz .LBB38_22
; %bb.21:                               ;   in Loop: Header=BB38_9 Depth=1
	v_lshlrev_b64 v[13:14], 3, v[9:10]
	s_delay_alu instid0(VALU_DEP_4) | instskip(SKIP_1) | instid1(VALU_DEP_2)
	v_mul_f64 v[17:18], v[1:2], v[11:12]
	s_mov_b32 s18, 0
	v_add_co_u32 v13, vcc_lo, v27, v13
	s_delay_alu instid0(VALU_DEP_3)
	v_add_co_ci_u32_e32 v14, vcc_lo, v28, v14, vcc_lo
	global_load_b64 v[15:16], v[13:14], off
	s_waitcnt vmcnt(0)
	v_fma_f64 v[15:16], v[3:4], v[15:16], v[17:18]
	global_store_b64 v[13:14], v[15:16], off
.LBB38_22:                              ;   in Loop: Header=BB38_9 Depth=1
	s_and_not1_b32 vcc_lo, exec_lo, s18
	s_cbranch_vccnz .LBB38_24
; %bb.23:                               ;   in Loop: Header=BB38_9 Depth=1
	v_mul_lo_u32 v10, v10, s14
	v_mul_lo_u32 v15, v9, s15
	v_mad_u64_u32 v[13:14], null, v9, s14, 0
	v_mul_f64 v[11:12], v[1:2], v[11:12]
	s_delay_alu instid0(VALU_DEP_2) | instskip(NEXT) | instid1(VALU_DEP_1)
	v_add3_u32 v14, v14, v15, v10
	v_lshlrev_b64 v[9:10], 3, v[13:14]
	s_delay_alu instid0(VALU_DEP_1) | instskip(NEXT) | instid1(VALU_DEP_2)
	v_add_co_u32 v9, vcc_lo, v29, v9
	v_add_co_ci_u32_e32 v10, vcc_lo, v30, v10, vcc_lo
	global_load_b64 v[13:14], v[9:10], off
	s_waitcnt vmcnt(0)
	v_fma_f64 v[11:12], v[3:4], v[13:14], v[11:12]
	global_store_b64 v[9:10], v[11:12], off
                                        ; implicit-def: $vgpr11_vgpr12
                                        ; implicit-def: $vgpr9
.LBB38_24:                              ;   in Loop: Header=BB38_9 Depth=1
	s_and_not1_saveexec_b32 s16, s16
	s_cbranch_execz .LBB38_8
; %bb.25:                               ;   in Loop: Header=BB38_9 Depth=1
	s_delay_alu instid0(VALU_DEP_3)
	v_mul_f64 v[11:12], v[1:2], v[11:12]
	s_and_b32 vcc_lo, exec_lo, s3
	s_mov_b32 s16, -1
	s_cbranch_vccz .LBB38_27
; %bb.26:                               ;   in Loop: Header=BB38_9 Depth=1
	v_lshlrev_b64 v[13:14], 3, v[9:10]
	s_mov_b32 s16, 0
	s_delay_alu instid0(VALU_DEP_1) | instskip(NEXT) | instid1(VALU_DEP_2)
	v_add_co_u32 v13, vcc_lo, v27, v13
	v_add_co_ci_u32_e32 v14, vcc_lo, v28, v14, vcc_lo
	global_store_b64 v[13:14], v[11:12], off
.LBB38_27:                              ;   in Loop: Header=BB38_9 Depth=1
	s_and_not1_b32 vcc_lo, exec_lo, s16
	s_cbranch_vccnz .LBB38_8
; %bb.28:                               ;   in Loop: Header=BB38_9 Depth=1
	v_mul_lo_u32 v10, v10, s14
	v_mul_lo_u32 v15, v9, s15
	v_mad_u64_u32 v[13:14], null, v9, s14, 0
	s_delay_alu instid0(VALU_DEP_1) | instskip(NEXT) | instid1(VALU_DEP_1)
	v_add3_u32 v14, v14, v15, v10
	v_lshlrev_b64 v[9:10], 3, v[13:14]
	s_delay_alu instid0(VALU_DEP_1) | instskip(NEXT) | instid1(VALU_DEP_2)
	v_add_co_u32 v9, vcc_lo, v29, v9
	v_add_co_ci_u32_e32 v10, vcc_lo, v30, v10, vcc_lo
	global_store_b64 v[9:10], v[11:12], off
	s_branch .LBB38_8
.LBB38_29:
	s_nop 0
	s_sendmsg sendmsg(MSG_DEALLOC_VGPRS)
	s_endpgm
	.section	.rodata,"a",@progbits
	.p2align	6, 0x0
	.amdhsa_kernel _ZN9rocsparseL29bsrmmnt_small_blockdim_kernelILj64ELj16ELj2EliddddEEv20rocsparse_direction_T3_S2_llNS_24const_host_device_scalarIT7_EEPKT2_PKS2_PKT4_PKT5_llS5_PT6_ll16rocsparse_order_21rocsparse_index_base_b
		.amdhsa_group_segment_fixed_size 1792
		.amdhsa_private_segment_fixed_size 0
		.amdhsa_kernarg_size 392
		.amdhsa_user_sgpr_count 15
		.amdhsa_user_sgpr_dispatch_ptr 0
		.amdhsa_user_sgpr_queue_ptr 0
		.amdhsa_user_sgpr_kernarg_segment_ptr 1
		.amdhsa_user_sgpr_dispatch_id 0
		.amdhsa_user_sgpr_private_segment_size 0
		.amdhsa_wavefront_size32 1
		.amdhsa_uses_dynamic_stack 0
		.amdhsa_enable_private_segment 0
		.amdhsa_system_sgpr_workgroup_id_x 1
		.amdhsa_system_sgpr_workgroup_id_y 0
		.amdhsa_system_sgpr_workgroup_id_z 0
		.amdhsa_system_sgpr_workgroup_info 0
		.amdhsa_system_vgpr_workitem_id 0
		.amdhsa_next_free_vgpr 46
		.amdhsa_next_free_sgpr 24
		.amdhsa_reserve_vcc 1
		.amdhsa_float_round_mode_32 0
		.amdhsa_float_round_mode_16_64 0
		.amdhsa_float_denorm_mode_32 3
		.amdhsa_float_denorm_mode_16_64 3
		.amdhsa_dx10_clamp 1
		.amdhsa_ieee_mode 1
		.amdhsa_fp16_overflow 0
		.amdhsa_workgroup_processor_mode 1
		.amdhsa_memory_ordered 1
		.amdhsa_forward_progress 0
		.amdhsa_shared_vgpr_count 0
		.amdhsa_exception_fp_ieee_invalid_op 0
		.amdhsa_exception_fp_denorm_src 0
		.amdhsa_exception_fp_ieee_div_zero 0
		.amdhsa_exception_fp_ieee_overflow 0
		.amdhsa_exception_fp_ieee_underflow 0
		.amdhsa_exception_fp_ieee_inexact 0
		.amdhsa_exception_int_div_zero 0
	.end_amdhsa_kernel
	.section	.text._ZN9rocsparseL29bsrmmnt_small_blockdim_kernelILj64ELj16ELj2EliddddEEv20rocsparse_direction_T3_S2_llNS_24const_host_device_scalarIT7_EEPKT2_PKS2_PKT4_PKT5_llS5_PT6_ll16rocsparse_order_21rocsparse_index_base_b,"axG",@progbits,_ZN9rocsparseL29bsrmmnt_small_blockdim_kernelILj64ELj16ELj2EliddddEEv20rocsparse_direction_T3_S2_llNS_24const_host_device_scalarIT7_EEPKT2_PKS2_PKT4_PKT5_llS5_PT6_ll16rocsparse_order_21rocsparse_index_base_b,comdat
.Lfunc_end38:
	.size	_ZN9rocsparseL29bsrmmnt_small_blockdim_kernelILj64ELj16ELj2EliddddEEv20rocsparse_direction_T3_S2_llNS_24const_host_device_scalarIT7_EEPKT2_PKS2_PKT4_PKT5_llS5_PT6_ll16rocsparse_order_21rocsparse_index_base_b, .Lfunc_end38-_ZN9rocsparseL29bsrmmnt_small_blockdim_kernelILj64ELj16ELj2EliddddEEv20rocsparse_direction_T3_S2_llNS_24const_host_device_scalarIT7_EEPKT2_PKS2_PKT4_PKT5_llS5_PT6_ll16rocsparse_order_21rocsparse_index_base_b
                                        ; -- End function
	.section	.AMDGPU.csdata,"",@progbits
; Kernel info:
; codeLenInByte = 1744
; NumSgprs: 26
; NumVgprs: 46
; ScratchSize: 0
; MemoryBound: 0
; FloatMode: 240
; IeeeMode: 1
; LDSByteSize: 1792 bytes/workgroup (compile time only)
; SGPRBlocks: 3
; VGPRBlocks: 5
; NumSGPRsForWavesPerEU: 26
; NumVGPRsForWavesPerEU: 46
; Occupancy: 16
; WaveLimiterHint : 1
; COMPUTE_PGM_RSRC2:SCRATCH_EN: 0
; COMPUTE_PGM_RSRC2:USER_SGPR: 15
; COMPUTE_PGM_RSRC2:TRAP_HANDLER: 0
; COMPUTE_PGM_RSRC2:TGID_X_EN: 1
; COMPUTE_PGM_RSRC2:TGID_Y_EN: 0
; COMPUTE_PGM_RSRC2:TGID_Z_EN: 0
; COMPUTE_PGM_RSRC2:TIDIG_COMP_CNT: 0
	.section	.text._ZN9rocsparseL29bsrmmnt_small_blockdim_kernelILj64ELj32ELj2EliddddEEv20rocsparse_direction_T3_S2_llNS_24const_host_device_scalarIT7_EEPKT2_PKS2_PKT4_PKT5_llS5_PT6_ll16rocsparse_order_21rocsparse_index_base_b,"axG",@progbits,_ZN9rocsparseL29bsrmmnt_small_blockdim_kernelILj64ELj32ELj2EliddddEEv20rocsparse_direction_T3_S2_llNS_24const_host_device_scalarIT7_EEPKT2_PKS2_PKT4_PKT5_llS5_PT6_ll16rocsparse_order_21rocsparse_index_base_b,comdat
	.globl	_ZN9rocsparseL29bsrmmnt_small_blockdim_kernelILj64ELj32ELj2EliddddEEv20rocsparse_direction_T3_S2_llNS_24const_host_device_scalarIT7_EEPKT2_PKS2_PKT4_PKT5_llS5_PT6_ll16rocsparse_order_21rocsparse_index_base_b ; -- Begin function _ZN9rocsparseL29bsrmmnt_small_blockdim_kernelILj64ELj32ELj2EliddddEEv20rocsparse_direction_T3_S2_llNS_24const_host_device_scalarIT7_EEPKT2_PKS2_PKT4_PKT5_llS5_PT6_ll16rocsparse_order_21rocsparse_index_base_b
	.p2align	8
	.type	_ZN9rocsparseL29bsrmmnt_small_blockdim_kernelILj64ELj32ELj2EliddddEEv20rocsparse_direction_T3_S2_llNS_24const_host_device_scalarIT7_EEPKT2_PKS2_PKT4_PKT5_llS5_PT6_ll16rocsparse_order_21rocsparse_index_base_b,@function
_ZN9rocsparseL29bsrmmnt_small_blockdim_kernelILj64ELj32ELj2EliddddEEv20rocsparse_direction_T3_S2_llNS_24const_host_device_scalarIT7_EEPKT2_PKS2_PKT4_PKT5_llS5_PT6_ll16rocsparse_order_21rocsparse_index_base_b: ; @_ZN9rocsparseL29bsrmmnt_small_blockdim_kernelILj64ELj32ELj2EliddddEEv20rocsparse_direction_T3_S2_llNS_24const_host_device_scalarIT7_EEPKT2_PKS2_PKT4_PKT5_llS5_PT6_ll16rocsparse_order_21rocsparse_index_base_b
; %bb.0:
	s_clause 0x2
	s_load_b128 s[16:19], s[0:1], 0x78
	s_load_b64 s[4:5], s[0:1], 0x20
	s_load_b64 s[2:3], s[0:1], 0x58
	s_waitcnt lgkmcnt(0)
	s_bitcmp1_b32 s18, 0
	v_dual_mov_b32 v1, s4 :: v_dual_mov_b32 v2, s5
	s_cselect_b32 s6, -1, 0
	s_delay_alu instid0(SALU_CYCLE_1)
	s_and_b32 vcc_lo, exec_lo, s6
	s_xor_b32 s6, s6, -1
	s_cbranch_vccnz .LBB39_2
; %bb.1:
	v_dual_mov_b32 v1, s4 :: v_dual_mov_b32 v2, s5
	flat_load_b64 v[1:2], v[1:2]
.LBB39_2:
	v_dual_mov_b32 v4, s3 :: v_dual_mov_b32 v3, s2
	s_and_not1_b32 vcc_lo, exec_lo, s6
	s_cbranch_vccnz .LBB39_4
; %bb.3:
	v_dual_mov_b32 v4, s3 :: v_dual_mov_b32 v3, s2
	flat_load_b64 v[3:4], v[3:4]
.LBB39_4:
	s_waitcnt vmcnt(0) lgkmcnt(0)
	v_cmp_neq_f64_e32 vcc_lo, 0, v[1:2]
	v_cmp_neq_f64_e64 s2, 1.0, v[3:4]
	s_delay_alu instid0(VALU_DEP_1) | instskip(NEXT) | instid1(SALU_CYCLE_1)
	s_or_b32 s2, vcc_lo, s2
	s_and_saveexec_b32 s3, s2
	s_cbranch_execz .LBB39_29
; %bb.5:
	s_clause 0x1
	s_load_b32 s2, s[0:1], 0x94
	s_load_b128 s[20:23], s[0:1], 0x0
	s_waitcnt lgkmcnt(0)
	s_and_b32 s2, s2, 0xffff
	s_delay_alu instid0(SALU_CYCLE_1) | instskip(NEXT) | instid1(VALU_DEP_1)
	v_mad_u64_u32 v[5:6], null, s15, s2, v[0:1]
	v_lshrrev_b32_e32 v6, 6, v5
	s_delay_alu instid0(VALU_DEP_1)
	v_cmp_gt_i32_e32 vcc_lo, s21, v6
	s_and_b32 exec_lo, exec_lo, vcc_lo
	s_cbranch_execz .LBB39_29
; %bb.6:
	s_cmp_lt_i32 s22, 1
	s_cbranch_scc1 .LBB39_29
; %bb.7:
	s_load_b256 s[4:11], s[0:1], 0x28
	v_lshlrev_b32_e32 v6, 3, v6
	s_load_b128 s[12:15], s[0:1], 0x60
	v_lshrrev_b32_e32 v8, 5, v5
	v_and_b32_e32 v23, 31, v0
	v_bfe_u32 v15, v5, 5, 1
	s_cmp_lg_u32 s16, 1
	s_cselect_b32 s3, -1, 0
	s_delay_alu instid0(VALU_DEP_2) | instskip(SKIP_3) | instid1(VALU_DEP_2)
	v_mul_u32_u24_e32 v5, 3, v23
	s_cmp_eq_u32 s20, 0
	v_lshlrev_b32_e32 v17, 3, v8
	s_cselect_b32 s2, -1, 0
	v_lshlrev_b32_e32 v16, 3, v5
	s_waitcnt lgkmcnt(0)
	global_load_b128 v[9:12], v6, s[4:5]
	s_load_b64 s[4:5], s[0:1], 0x48
	v_mad_u64_u32 v[6:7], null, v8, s14, 0
	v_cmp_neq_f64_e64 s0, 0, v[3:4]
	s_delay_alu instid0(VALU_DEP_2) | instskip(SKIP_1) | instid1(VALU_DEP_1)
	v_mad_u64_u32 v[13:14], null, v8, s15, v[7:8]
	v_lshrrev_b32_e32 v14, 5, v0
	v_lshl_or_b32 v0, v14, 7, 0x600
	s_delay_alu instid0(VALU_DEP_3)
	v_mov_b32_e32 v7, v13
	v_cndmask_b32_e64 v13, 0, 1, s2
	v_mul_u32_u24_e32 v24, 0x300, v14
	v_mad_u32_u24 v26, 0x300, v14, v16
	v_lshl_or_b32 v25, v23, 2, v0
	v_lshlrev_b64 v[5:6], 3, v[6:7]
	v_lshlrev_b32_e32 v31, v13, v15
	s_and_b32 s2, s2, exec_lo
	s_delay_alu instid0(VALU_DEP_2) | instskip(NEXT) | instid1(VALU_DEP_3)
	v_add_co_u32 v27, vcc_lo, s12, v5
	v_add_co_ci_u32_e32 v28, vcc_lo, s13, v6, vcc_lo
	v_add_co_u32 v29, s12, s12, v17
	s_delay_alu instid0(VALU_DEP_1)
	v_add_co_ci_u32_e64 v30, null, s13, 0, s12
	s_mov_b32 s12, 0
	s_cselect_b32 s13, 1, 2
	s_waitcnt vmcnt(0)
	v_sub_co_u32 v5, vcc_lo, v9, s17
	v_subrev_co_ci_u32_e32 v6, vcc_lo, 0, v10, vcc_lo
	v_sub_co_u32 v7, vcc_lo, v11, s17
	v_cmp_lt_i64_e64 s1, v[9:10], v[11:12]
	v_subrev_co_ci_u32_e32 v8, vcc_lo, 0, v12, vcc_lo
	s_branch .LBB39_9
.LBB39_8:                               ;   in Loop: Header=BB39_9 Depth=1
	s_or_b32 exec_lo, exec_lo, s2
	s_add_i32 s12, s12, 32
	s_delay_alu instid0(SALU_CYCLE_1)
	s_cmp_lt_i32 s12, s22
	s_cbranch_scc0 .LBB39_29
.LBB39_9:                               ; =>This Loop Header: Depth=1
                                        ;     Child Loop BB39_12 Depth 2
                                        ;       Child Loop BB39_16 Depth 3
	v_or_b32_e32 v9, s12, v23
	v_mov_b32_e32 v11, 0
	v_mov_b32_e32 v12, 0
	s_delay_alu instid0(VALU_DEP_3)
	v_ashrrev_i32_e32 v10, 31, v9
	s_and_saveexec_b32 s16, s1
	s_cbranch_execz .LBB39_18
; %bb.10:                               ;   in Loop: Header=BB39_9 Depth=1
	s_delay_alu instid0(VALU_DEP_1) | instskip(SKIP_3) | instid1(VALU_DEP_4)
	v_lshlrev_b64 v[11:12], 3, v[9:10]
	v_dual_mov_b32 v13, 0 :: v_dual_mov_b32 v16, v6
	v_dual_mov_b32 v14, 0 :: v_dual_mov_b32 v15, v5
	v_cmp_gt_i32_e32 vcc_lo, s22, v9
	v_add_co_u32 v32, s2, s10, v11
	s_delay_alu instid0(VALU_DEP_1) | instskip(NEXT) | instid1(VALU_DEP_4)
	v_add_co_ci_u32_e64 v33, s2, s11, v12, s2
	v_dual_mov_b32 v11, v13 :: v_dual_mov_b32 v12, v14
	s_mov_b32 s18, 0
	s_branch .LBB39_12
.LBB39_11:                              ;   in Loop: Header=BB39_12 Depth=2
	s_or_b32 exec_lo, exec_lo, s19
	v_add_co_u32 v15, s2, v15, 32
	s_delay_alu instid0(VALU_DEP_1) | instskip(NEXT) | instid1(VALU_DEP_1)
	v_add_co_ci_u32_e64 v16, s2, 0, v16, s2
	v_cmp_ge_i64_e64 s2, v[15:16], v[7:8]
	s_delay_alu instid0(VALU_DEP_1) | instskip(NEXT) | instid1(SALU_CYCLE_1)
	s_or_b32 s18, s2, s18
	s_and_not1_b32 exec_lo, exec_lo, s18
	s_cbranch_execz .LBB39_17
.LBB39_12:                              ;   Parent Loop BB39_9 Depth=1
                                        ; =>  This Loop Header: Depth=2
                                        ;       Child Loop BB39_16 Depth 3
	v_add_co_u32 v21, s2, v15, v23
	v_mov_b32_e32 v18, v14
	v_dual_mov_b32 v20, v14 :: v_dual_mov_b32 v19, v13
	v_add_co_ci_u32_e64 v22, s2, 0, v16, s2
	v_dual_mov_b32 v34, 0 :: v_dual_mov_b32 v17, v13
	s_mov_b32 s19, exec_lo
	s_delay_alu instid0(VALU_DEP_2)
	v_cmpx_lt_i64_e64 v[21:22], v[7:8]
	s_cbranch_execz .LBB39_14
; %bb.13:                               ;   in Loop: Header=BB39_12 Depth=2
	v_lshlrev_b64 v[17:18], 2, v[21:22]
	s_delay_alu instid0(VALU_DEP_1) | instskip(NEXT) | instid1(VALU_DEP_2)
	v_or_b32_e32 v20, 0, v18
	v_or_b32_e32 v19, v17, v31
	v_add_co_u32 v17, s2, s6, v17
	s_delay_alu instid0(VALU_DEP_1) | instskip(NEXT) | instid1(VALU_DEP_4)
	v_add_co_ci_u32_e64 v18, s2, s7, v18, s2
	v_or_b32_e32 v22, 0, v20
	s_delay_alu instid0(VALU_DEP_4) | instskip(SKIP_4) | instid1(VALU_DEP_1)
	v_or_b32_e32 v21, s13, v19
	v_lshlrev_b64 v[19:20], 3, v[19:20]
	global_load_b32 v34, v[17:18], off
	v_lshlrev_b64 v[17:18], 3, v[21:22]
	v_add_co_u32 v19, s2, s8, v19
	v_add_co_ci_u32_e64 v20, s2, s9, v20, s2
	s_delay_alu instid0(VALU_DEP_3) | instskip(NEXT) | instid1(VALU_DEP_1)
	v_add_co_u32 v21, s2, s8, v17
	v_add_co_ci_u32_e64 v22, s2, s9, v18, s2
	s_clause 0x1
	global_load_b64 v[17:18], v[19:20], off
	global_load_b64 v[19:20], v[21:22], off
	s_waitcnt vmcnt(2)
	v_subrev_nc_u32_e32 v21, s17, v34
	s_delay_alu instid0(VALU_DEP_1)
	v_lshlrev_b32_e32 v34, 1, v21
.LBB39_14:                              ;   in Loop: Header=BB39_12 Depth=2
	s_or_b32 exec_lo, exec_lo, s19
	ds_store_b32 v25, v34
	s_waitcnt vmcnt(0)
	ds_store_2addr_b64 v26, v[17:18], v[19:20] offset1:1
	s_waitcnt lgkmcnt(0)
	s_waitcnt_vscnt null, 0x0
	s_barrier
	buffer_gl0_inv
	s_and_saveexec_b32 s19, vcc_lo
	s_cbranch_execz .LBB39_11
; %bb.15:                               ;   in Loop: Header=BB39_12 Depth=2
	v_mov_b32_e32 v17, v24
	s_mov_b32 s20, 0
.LBB39_16:                              ;   Parent Loop BB39_9 Depth=1
                                        ;     Parent Loop BB39_12 Depth=2
                                        ; =>    This Inner Loop Header: Depth=3
	s_delay_alu instid0(SALU_CYCLE_1) | instskip(SKIP_1) | instid1(SALU_CYCLE_1)
	v_add_nc_u32_e32 v18, s20, v0
	s_add_i32 s20, s20, 8
	s_cmpk_lg_i32 s20, 0x80
	ds_load_b64 v[18:19], v18
	s_waitcnt lgkmcnt(0)
	v_ashrrev_i32_e32 v22, 31, v18
	v_mul_lo_u32 v34, v18, s5
	v_mad_u64_u32 v[20:21], null, v18, s4, 0
	v_add_nc_u32_e32 v18, 1, v18
	s_delay_alu instid0(VALU_DEP_4) | instskip(NEXT) | instid1(VALU_DEP_1)
	v_mul_lo_u32 v22, v22, s4
	v_add3_u32 v21, v21, v34, v22
	s_delay_alu instid0(VALU_DEP_3) | instskip(SKIP_1) | instid1(VALU_DEP_3)
	v_ashrrev_i32_e32 v22, 31, v18
	v_mul_lo_u32 v34, v18, s5
	v_lshlrev_b64 v[20:21], 3, v[20:21]
	s_delay_alu instid0(VALU_DEP_1) | instskip(NEXT) | instid1(VALU_DEP_1)
	v_add_co_u32 v20, s2, v32, v20
	v_add_co_ci_u32_e64 v21, s2, v33, v21, s2
	global_load_b64 v[38:39], v[20:21], off
	v_mad_u64_u32 v[20:21], null, v18, s4, 0
	v_mul_lo_u32 v18, v22, s4
	v_mul_lo_u32 v22, v19, s5
	s_delay_alu instid0(VALU_DEP_2) | instskip(SKIP_1) | instid1(VALU_DEP_2)
	v_add3_u32 v21, v21, v34, v18
	v_ashrrev_i32_e32 v18, 31, v19
	v_lshlrev_b64 v[20:21], 3, v[20:21]
	s_delay_alu instid0(VALU_DEP_2) | instskip(NEXT) | instid1(VALU_DEP_2)
	v_mul_lo_u32 v18, v18, s4
	v_add_co_u32 v20, s2, v32, v20
	s_delay_alu instid0(VALU_DEP_1) | instskip(SKIP_2) | instid1(VALU_DEP_1)
	v_add_co_ci_u32_e64 v21, s2, v33, v21, s2
	global_load_b64 v[40:41], v[20:21], off
	v_mad_u64_u32 v[20:21], null, v19, s4, 0
	v_add3_u32 v21, v21, v22, v18
	s_delay_alu instid0(VALU_DEP_1) | instskip(NEXT) | instid1(VALU_DEP_1)
	v_lshlrev_b64 v[20:21], 3, v[20:21]
	v_add_co_u32 v20, s2, v32, v20
	s_delay_alu instid0(VALU_DEP_1) | instskip(SKIP_2) | instid1(VALU_DEP_1)
	v_add_co_ci_u32_e64 v21, s2, v33, v21, s2
	global_load_b64 v[42:43], v[20:21], off
	v_add_nc_u32_e32 v20, 1, v19
	v_ashrrev_i32_e32 v21, 31, v20
	v_mul_lo_u32 v22, v20, s5
	v_mad_u64_u32 v[18:19], null, v20, s4, 0
	s_delay_alu instid0(VALU_DEP_3) | instskip(NEXT) | instid1(VALU_DEP_1)
	v_mul_lo_u32 v20, v21, s4
	v_add3_u32 v19, v19, v22, v20
	s_delay_alu instid0(VALU_DEP_1) | instskip(NEXT) | instid1(VALU_DEP_1)
	v_lshlrev_b64 v[18:19], 3, v[18:19]
	v_add_co_u32 v18, s2, v32, v18
	s_delay_alu instid0(VALU_DEP_1)
	v_add_co_ci_u32_e64 v19, s2, v33, v19, s2
	global_load_b64 v[44:45], v[18:19], off
	ds_load_b128 v[18:21], v17
	ds_load_2addr_b64 v[34:37], v17 offset0:3 offset1:4
	v_add_nc_u32_e32 v17, 48, v17
	s_waitcnt vmcnt(3) lgkmcnt(1)
	v_fma_f64 v[11:12], v[18:19], v[38:39], v[11:12]
	s_waitcnt vmcnt(2)
	s_delay_alu instid0(VALU_DEP_1) | instskip(SKIP_1) | instid1(VALU_DEP_1)
	v_fma_f64 v[11:12], v[20:21], v[40:41], v[11:12]
	s_waitcnt vmcnt(1) lgkmcnt(0)
	v_fma_f64 v[11:12], v[34:35], v[42:43], v[11:12]
	s_waitcnt vmcnt(0)
	s_delay_alu instid0(VALU_DEP_1)
	v_fma_f64 v[11:12], v[36:37], v[44:45], v[11:12]
	s_cbranch_scc1 .LBB39_16
	s_branch .LBB39_11
.LBB39_17:                              ;   in Loop: Header=BB39_9 Depth=1
	s_or_b32 exec_lo, exec_lo, s18
.LBB39_18:                              ;   in Loop: Header=BB39_9 Depth=1
	s_delay_alu instid0(SALU_CYCLE_1) | instskip(NEXT) | instid1(SALU_CYCLE_1)
	s_or_b32 exec_lo, exec_lo, s16
	s_mov_b32 s2, exec_lo
	v_cmpx_gt_i32_e64 s22, v9
	s_cbranch_execz .LBB39_8
; %bb.19:                               ;   in Loop: Header=BB39_9 Depth=1
	s_and_saveexec_b32 s16, s0
	s_delay_alu instid0(SALU_CYCLE_1)
	s_xor_b32 s16, exec_lo, s16
	s_cbranch_execz .LBB39_24
; %bb.20:                               ;   in Loop: Header=BB39_9 Depth=1
	s_and_b32 vcc_lo, exec_lo, s3
	s_mov_b32 s18, -1
	s_cbranch_vccz .LBB39_22
; %bb.21:                               ;   in Loop: Header=BB39_9 Depth=1
	v_lshlrev_b64 v[13:14], 3, v[9:10]
	s_delay_alu instid0(VALU_DEP_4) | instskip(SKIP_1) | instid1(VALU_DEP_2)
	v_mul_f64 v[17:18], v[1:2], v[11:12]
	s_mov_b32 s18, 0
	v_add_co_u32 v13, vcc_lo, v27, v13
	s_delay_alu instid0(VALU_DEP_3)
	v_add_co_ci_u32_e32 v14, vcc_lo, v28, v14, vcc_lo
	global_load_b64 v[15:16], v[13:14], off
	s_waitcnt vmcnt(0)
	v_fma_f64 v[15:16], v[3:4], v[15:16], v[17:18]
	global_store_b64 v[13:14], v[15:16], off
.LBB39_22:                              ;   in Loop: Header=BB39_9 Depth=1
	s_and_not1_b32 vcc_lo, exec_lo, s18
	s_cbranch_vccnz .LBB39_24
; %bb.23:                               ;   in Loop: Header=BB39_9 Depth=1
	v_mul_lo_u32 v10, v10, s14
	v_mul_lo_u32 v15, v9, s15
	v_mad_u64_u32 v[13:14], null, v9, s14, 0
	v_mul_f64 v[11:12], v[1:2], v[11:12]
	s_delay_alu instid0(VALU_DEP_2) | instskip(NEXT) | instid1(VALU_DEP_1)
	v_add3_u32 v14, v14, v15, v10
	v_lshlrev_b64 v[9:10], 3, v[13:14]
	s_delay_alu instid0(VALU_DEP_1) | instskip(NEXT) | instid1(VALU_DEP_2)
	v_add_co_u32 v9, vcc_lo, v29, v9
	v_add_co_ci_u32_e32 v10, vcc_lo, v30, v10, vcc_lo
	global_load_b64 v[13:14], v[9:10], off
	s_waitcnt vmcnt(0)
	v_fma_f64 v[11:12], v[3:4], v[13:14], v[11:12]
	global_store_b64 v[9:10], v[11:12], off
                                        ; implicit-def: $vgpr11_vgpr12
                                        ; implicit-def: $vgpr9
.LBB39_24:                              ;   in Loop: Header=BB39_9 Depth=1
	s_and_not1_saveexec_b32 s16, s16
	s_cbranch_execz .LBB39_8
; %bb.25:                               ;   in Loop: Header=BB39_9 Depth=1
	s_delay_alu instid0(VALU_DEP_3)
	v_mul_f64 v[11:12], v[1:2], v[11:12]
	s_and_b32 vcc_lo, exec_lo, s3
	s_mov_b32 s16, -1
	s_cbranch_vccz .LBB39_27
; %bb.26:                               ;   in Loop: Header=BB39_9 Depth=1
	v_lshlrev_b64 v[13:14], 3, v[9:10]
	s_mov_b32 s16, 0
	s_delay_alu instid0(VALU_DEP_1) | instskip(NEXT) | instid1(VALU_DEP_2)
	v_add_co_u32 v13, vcc_lo, v27, v13
	v_add_co_ci_u32_e32 v14, vcc_lo, v28, v14, vcc_lo
	global_store_b64 v[13:14], v[11:12], off
.LBB39_27:                              ;   in Loop: Header=BB39_9 Depth=1
	s_and_not1_b32 vcc_lo, exec_lo, s16
	s_cbranch_vccnz .LBB39_8
; %bb.28:                               ;   in Loop: Header=BB39_9 Depth=1
	v_mul_lo_u32 v10, v10, s14
	v_mul_lo_u32 v15, v9, s15
	v_mad_u64_u32 v[13:14], null, v9, s14, 0
	s_delay_alu instid0(VALU_DEP_1) | instskip(NEXT) | instid1(VALU_DEP_1)
	v_add3_u32 v14, v14, v15, v10
	v_lshlrev_b64 v[9:10], 3, v[13:14]
	s_delay_alu instid0(VALU_DEP_1) | instskip(NEXT) | instid1(VALU_DEP_2)
	v_add_co_u32 v9, vcc_lo, v29, v9
	v_add_co_ci_u32_e32 v10, vcc_lo, v30, v10, vcc_lo
	global_store_b64 v[9:10], v[11:12], off
	s_branch .LBB39_8
.LBB39_29:
	s_nop 0
	s_sendmsg sendmsg(MSG_DEALLOC_VGPRS)
	s_endpgm
	.section	.rodata,"a",@progbits
	.p2align	6, 0x0
	.amdhsa_kernel _ZN9rocsparseL29bsrmmnt_small_blockdim_kernelILj64ELj32ELj2EliddddEEv20rocsparse_direction_T3_S2_llNS_24const_host_device_scalarIT7_EEPKT2_PKS2_PKT4_PKT5_llS5_PT6_ll16rocsparse_order_21rocsparse_index_base_b
		.amdhsa_group_segment_fixed_size 1792
		.amdhsa_private_segment_fixed_size 0
		.amdhsa_kernarg_size 392
		.amdhsa_user_sgpr_count 15
		.amdhsa_user_sgpr_dispatch_ptr 0
		.amdhsa_user_sgpr_queue_ptr 0
		.amdhsa_user_sgpr_kernarg_segment_ptr 1
		.amdhsa_user_sgpr_dispatch_id 0
		.amdhsa_user_sgpr_private_segment_size 0
		.amdhsa_wavefront_size32 1
		.amdhsa_uses_dynamic_stack 0
		.amdhsa_enable_private_segment 0
		.amdhsa_system_sgpr_workgroup_id_x 1
		.amdhsa_system_sgpr_workgroup_id_y 0
		.amdhsa_system_sgpr_workgroup_id_z 0
		.amdhsa_system_sgpr_workgroup_info 0
		.amdhsa_system_vgpr_workitem_id 0
		.amdhsa_next_free_vgpr 46
		.amdhsa_next_free_sgpr 24
		.amdhsa_reserve_vcc 1
		.amdhsa_float_round_mode_32 0
		.amdhsa_float_round_mode_16_64 0
		.amdhsa_float_denorm_mode_32 3
		.amdhsa_float_denorm_mode_16_64 3
		.amdhsa_dx10_clamp 1
		.amdhsa_ieee_mode 1
		.amdhsa_fp16_overflow 0
		.amdhsa_workgroup_processor_mode 1
		.amdhsa_memory_ordered 1
		.amdhsa_forward_progress 0
		.amdhsa_shared_vgpr_count 0
		.amdhsa_exception_fp_ieee_invalid_op 0
		.amdhsa_exception_fp_denorm_src 0
		.amdhsa_exception_fp_ieee_div_zero 0
		.amdhsa_exception_fp_ieee_overflow 0
		.amdhsa_exception_fp_ieee_underflow 0
		.amdhsa_exception_fp_ieee_inexact 0
		.amdhsa_exception_int_div_zero 0
	.end_amdhsa_kernel
	.section	.text._ZN9rocsparseL29bsrmmnt_small_blockdim_kernelILj64ELj32ELj2EliddddEEv20rocsparse_direction_T3_S2_llNS_24const_host_device_scalarIT7_EEPKT2_PKS2_PKT4_PKT5_llS5_PT6_ll16rocsparse_order_21rocsparse_index_base_b,"axG",@progbits,_ZN9rocsparseL29bsrmmnt_small_blockdim_kernelILj64ELj32ELj2EliddddEEv20rocsparse_direction_T3_S2_llNS_24const_host_device_scalarIT7_EEPKT2_PKS2_PKT4_PKT5_llS5_PT6_ll16rocsparse_order_21rocsparse_index_base_b,comdat
.Lfunc_end39:
	.size	_ZN9rocsparseL29bsrmmnt_small_blockdim_kernelILj64ELj32ELj2EliddddEEv20rocsparse_direction_T3_S2_llNS_24const_host_device_scalarIT7_EEPKT2_PKS2_PKT4_PKT5_llS5_PT6_ll16rocsparse_order_21rocsparse_index_base_b, .Lfunc_end39-_ZN9rocsparseL29bsrmmnt_small_blockdim_kernelILj64ELj32ELj2EliddddEEv20rocsparse_direction_T3_S2_llNS_24const_host_device_scalarIT7_EEPKT2_PKS2_PKT4_PKT5_llS5_PT6_ll16rocsparse_order_21rocsparse_index_base_b
                                        ; -- End function
	.section	.AMDGPU.csdata,"",@progbits
; Kernel info:
; codeLenInByte = 1744
; NumSgprs: 26
; NumVgprs: 46
; ScratchSize: 0
; MemoryBound: 0
; FloatMode: 240
; IeeeMode: 1
; LDSByteSize: 1792 bytes/workgroup (compile time only)
; SGPRBlocks: 3
; VGPRBlocks: 5
; NumSGPRsForWavesPerEU: 26
; NumVGPRsForWavesPerEU: 46
; Occupancy: 16
; WaveLimiterHint : 1
; COMPUTE_PGM_RSRC2:SCRATCH_EN: 0
; COMPUTE_PGM_RSRC2:USER_SGPR: 15
; COMPUTE_PGM_RSRC2:TRAP_HANDLER: 0
; COMPUTE_PGM_RSRC2:TGID_X_EN: 1
; COMPUTE_PGM_RSRC2:TGID_Y_EN: 0
; COMPUTE_PGM_RSRC2:TGID_Z_EN: 0
; COMPUTE_PGM_RSRC2:TIDIG_COMP_CNT: 0
	.section	.text._ZN9rocsparseL29bsrmmnt_small_blockdim_kernelILj64ELj64ELj2EliddddEEv20rocsparse_direction_T3_S2_llNS_24const_host_device_scalarIT7_EEPKT2_PKS2_PKT4_PKT5_llS5_PT6_ll16rocsparse_order_21rocsparse_index_base_b,"axG",@progbits,_ZN9rocsparseL29bsrmmnt_small_blockdim_kernelILj64ELj64ELj2EliddddEEv20rocsparse_direction_T3_S2_llNS_24const_host_device_scalarIT7_EEPKT2_PKS2_PKT4_PKT5_llS5_PT6_ll16rocsparse_order_21rocsparse_index_base_b,comdat
	.globl	_ZN9rocsparseL29bsrmmnt_small_blockdim_kernelILj64ELj64ELj2EliddddEEv20rocsparse_direction_T3_S2_llNS_24const_host_device_scalarIT7_EEPKT2_PKS2_PKT4_PKT5_llS5_PT6_ll16rocsparse_order_21rocsparse_index_base_b ; -- Begin function _ZN9rocsparseL29bsrmmnt_small_blockdim_kernelILj64ELj64ELj2EliddddEEv20rocsparse_direction_T3_S2_llNS_24const_host_device_scalarIT7_EEPKT2_PKS2_PKT4_PKT5_llS5_PT6_ll16rocsparse_order_21rocsparse_index_base_b
	.p2align	8
	.type	_ZN9rocsparseL29bsrmmnt_small_blockdim_kernelILj64ELj64ELj2EliddddEEv20rocsparse_direction_T3_S2_llNS_24const_host_device_scalarIT7_EEPKT2_PKS2_PKT4_PKT5_llS5_PT6_ll16rocsparse_order_21rocsparse_index_base_b,@function
_ZN9rocsparseL29bsrmmnt_small_blockdim_kernelILj64ELj64ELj2EliddddEEv20rocsparse_direction_T3_S2_llNS_24const_host_device_scalarIT7_EEPKT2_PKS2_PKT4_PKT5_llS5_PT6_ll16rocsparse_order_21rocsparse_index_base_b: ; @_ZN9rocsparseL29bsrmmnt_small_blockdim_kernelILj64ELj64ELj2EliddddEEv20rocsparse_direction_T3_S2_llNS_24const_host_device_scalarIT7_EEPKT2_PKS2_PKT4_PKT5_llS5_PT6_ll16rocsparse_order_21rocsparse_index_base_b
; %bb.0:
	s_clause 0x2
	s_load_b128 s[16:19], s[0:1], 0x78
	s_load_b64 s[4:5], s[0:1], 0x20
	s_load_b64 s[2:3], s[0:1], 0x58
	s_waitcnt lgkmcnt(0)
	s_bitcmp1_b32 s18, 0
	v_dual_mov_b32 v1, s4 :: v_dual_mov_b32 v2, s5
	s_cselect_b32 s6, -1, 0
	s_delay_alu instid0(SALU_CYCLE_1)
	s_and_b32 vcc_lo, exec_lo, s6
	s_xor_b32 s6, s6, -1
	s_cbranch_vccnz .LBB40_2
; %bb.1:
	v_dual_mov_b32 v1, s4 :: v_dual_mov_b32 v2, s5
	flat_load_b64 v[1:2], v[1:2]
.LBB40_2:
	v_dual_mov_b32 v4, s3 :: v_dual_mov_b32 v3, s2
	s_and_not1_b32 vcc_lo, exec_lo, s6
	s_cbranch_vccnz .LBB40_4
; %bb.3:
	v_dual_mov_b32 v4, s3 :: v_dual_mov_b32 v3, s2
	flat_load_b64 v[3:4], v[3:4]
.LBB40_4:
	s_waitcnt vmcnt(0) lgkmcnt(0)
	v_cmp_neq_f64_e32 vcc_lo, 0, v[1:2]
	v_cmp_neq_f64_e64 s2, 1.0, v[3:4]
	s_delay_alu instid0(VALU_DEP_1) | instskip(NEXT) | instid1(SALU_CYCLE_1)
	s_or_b32 s2, vcc_lo, s2
	s_and_saveexec_b32 s3, s2
	s_cbranch_execz .LBB40_29
; %bb.5:
	s_clause 0x1
	s_load_b32 s2, s[0:1], 0x94
	s_load_b128 s[20:23], s[0:1], 0x0
	s_waitcnt lgkmcnt(0)
	s_and_b32 s2, s2, 0xffff
	s_delay_alu instid0(SALU_CYCLE_1) | instskip(NEXT) | instid1(VALU_DEP_1)
	v_mad_u64_u32 v[5:6], null, s15, s2, v[0:1]
	v_lshrrev_b32_e32 v6, 7, v5
	s_delay_alu instid0(VALU_DEP_1)
	v_cmp_gt_i32_e32 vcc_lo, s21, v6
	s_and_b32 exec_lo, exec_lo, vcc_lo
	s_cbranch_execz .LBB40_29
; %bb.6:
	s_cmp_lt_i32 s22, 1
	s_cbranch_scc1 .LBB40_29
; %bb.7:
	s_load_b256 s[4:11], s[0:1], 0x28
	v_lshlrev_b32_e32 v6, 3, v6
	s_load_b128 s[12:15], s[0:1], 0x60
	v_lshrrev_b32_e32 v8, 6, v5
	s_cmp_lg_u32 s16, 1
	v_lshl_or_b32 v23, v0, 2, 0x600
	s_cselect_b32 s3, -1, 0
	s_cmp_eq_u32 s20, 0
	s_cselect_b32 s2, -1, 0
	s_delay_alu instid0(SALU_CYCLE_1)
	v_cndmask_b32_e64 v15, 0, 1, s2
	s_and_b32 s2, s2, exec_lo
	s_waitcnt lgkmcnt(0)
	global_load_b128 v[9:12], v6, s[4:5]
	s_load_b64 s[4:5], s[0:1], 0x48
	v_mad_u64_u32 v[6:7], null, v8, s14, 0
	v_cmp_neq_f64_e64 s0, 0, v[3:4]
	s_delay_alu instid0(VALU_DEP_2) | instskip(SKIP_1) | instid1(VALU_DEP_1)
	v_mad_u64_u32 v[13:14], null, v8, s15, v[7:8]
	v_bfe_u32 v14, v5, 6, 1
	v_lshlrev_b32_e32 v29, v15, v14
	s_delay_alu instid0(VALU_DEP_3) | instskip(SKIP_1) | instid1(VALU_DEP_2)
	v_mov_b32_e32 v7, v13
	v_mul_u32_u24_e32 v13, 3, v0
	v_lshlrev_b64 v[5:6], 3, v[6:7]
	s_delay_alu instid0(VALU_DEP_2) | instskip(SKIP_1) | instid1(VALU_DEP_3)
	v_lshlrev_b32_e32 v24, 3, v13
	v_lshlrev_b32_e32 v13, 3, v8
	v_add_co_u32 v25, vcc_lo, s12, v5
	s_delay_alu instid0(VALU_DEP_4) | instskip(NEXT) | instid1(VALU_DEP_3)
	v_add_co_ci_u32_e32 v26, vcc_lo, s13, v6, vcc_lo
	v_add_co_u32 v27, s12, s12, v13
	s_delay_alu instid0(VALU_DEP_1)
	v_add_co_ci_u32_e64 v28, null, s13, 0, s12
	s_mov_b32 s12, 0
	s_cselect_b32 s13, 1, 2
	s_waitcnt vmcnt(0)
	v_sub_co_u32 v5, vcc_lo, v9, s17
	v_subrev_co_ci_u32_e32 v6, vcc_lo, 0, v10, vcc_lo
	v_sub_co_u32 v7, vcc_lo, v11, s17
	v_cmp_lt_i64_e64 s1, v[9:10], v[11:12]
	v_subrev_co_ci_u32_e32 v8, vcc_lo, 0, v12, vcc_lo
	s_branch .LBB40_9
.LBB40_8:                               ;   in Loop: Header=BB40_9 Depth=1
	s_or_b32 exec_lo, exec_lo, s2
	s_add_i32 s12, s12, 64
	s_delay_alu instid0(SALU_CYCLE_1)
	s_cmp_lt_i32 s12, s22
	s_cbranch_scc0 .LBB40_29
.LBB40_9:                               ; =>This Loop Header: Depth=1
                                        ;     Child Loop BB40_12 Depth 2
                                        ;       Child Loop BB40_16 Depth 3
	v_or_b32_e32 v9, s12, v0
	v_mov_b32_e32 v11, 0
	v_mov_b32_e32 v12, 0
	s_delay_alu instid0(VALU_DEP_3)
	v_ashrrev_i32_e32 v10, 31, v9
	s_and_saveexec_b32 s16, s1
	s_cbranch_execz .LBB40_18
; %bb.10:                               ;   in Loop: Header=BB40_9 Depth=1
	s_delay_alu instid0(VALU_DEP_1) | instskip(SKIP_3) | instid1(VALU_DEP_4)
	v_lshlrev_b64 v[11:12], 3, v[9:10]
	v_dual_mov_b32 v13, 0 :: v_dual_mov_b32 v16, v6
	v_dual_mov_b32 v14, 0 :: v_dual_mov_b32 v15, v5
	v_cmp_gt_i32_e32 vcc_lo, s22, v9
	v_add_co_u32 v30, s2, s10, v11
	s_delay_alu instid0(VALU_DEP_1) | instskip(NEXT) | instid1(VALU_DEP_4)
	v_add_co_ci_u32_e64 v31, s2, s11, v12, s2
	v_dual_mov_b32 v11, v13 :: v_dual_mov_b32 v12, v14
	s_mov_b32 s18, 0
	s_branch .LBB40_12
.LBB40_11:                              ;   in Loop: Header=BB40_12 Depth=2
	s_or_b32 exec_lo, exec_lo, s19
	v_add_co_u32 v15, s2, v15, 64
	s_delay_alu instid0(VALU_DEP_1) | instskip(NEXT) | instid1(VALU_DEP_1)
	v_add_co_ci_u32_e64 v16, s2, 0, v16, s2
	v_cmp_ge_i64_e64 s2, v[15:16], v[7:8]
	s_delay_alu instid0(VALU_DEP_1) | instskip(NEXT) | instid1(SALU_CYCLE_1)
	s_or_b32 s18, s2, s18
	s_and_not1_b32 exec_lo, exec_lo, s18
	s_cbranch_execz .LBB40_17
.LBB40_12:                              ;   Parent Loop BB40_9 Depth=1
                                        ; =>  This Loop Header: Depth=2
                                        ;       Child Loop BB40_16 Depth 3
	v_add_co_u32 v21, s2, v15, v0
	v_mov_b32_e32 v18, v14
	v_dual_mov_b32 v20, v14 :: v_dual_mov_b32 v19, v13
	v_add_co_ci_u32_e64 v22, s2, 0, v16, s2
	v_dual_mov_b32 v32, 0 :: v_dual_mov_b32 v17, v13
	s_mov_b32 s19, exec_lo
	s_delay_alu instid0(VALU_DEP_2)
	v_cmpx_lt_i64_e64 v[21:22], v[7:8]
	s_cbranch_execz .LBB40_14
; %bb.13:                               ;   in Loop: Header=BB40_12 Depth=2
	v_lshlrev_b64 v[17:18], 2, v[21:22]
	s_delay_alu instid0(VALU_DEP_1) | instskip(NEXT) | instid1(VALU_DEP_2)
	v_or_b32_e32 v20, 0, v18
	v_or_b32_e32 v19, v17, v29
	v_add_co_u32 v17, s2, s6, v17
	s_delay_alu instid0(VALU_DEP_1) | instskip(NEXT) | instid1(VALU_DEP_4)
	v_add_co_ci_u32_e64 v18, s2, s7, v18, s2
	v_or_b32_e32 v22, 0, v20
	s_delay_alu instid0(VALU_DEP_4) | instskip(SKIP_4) | instid1(VALU_DEP_1)
	v_or_b32_e32 v21, s13, v19
	v_lshlrev_b64 v[19:20], 3, v[19:20]
	global_load_b32 v32, v[17:18], off
	v_lshlrev_b64 v[17:18], 3, v[21:22]
	v_add_co_u32 v19, s2, s8, v19
	v_add_co_ci_u32_e64 v20, s2, s9, v20, s2
	s_delay_alu instid0(VALU_DEP_3) | instskip(NEXT) | instid1(VALU_DEP_1)
	v_add_co_u32 v21, s2, s8, v17
	v_add_co_ci_u32_e64 v22, s2, s9, v18, s2
	s_clause 0x1
	global_load_b64 v[17:18], v[19:20], off
	global_load_b64 v[19:20], v[21:22], off
	s_waitcnt vmcnt(2)
	v_subrev_nc_u32_e32 v21, s17, v32
	s_delay_alu instid0(VALU_DEP_1)
	v_lshlrev_b32_e32 v32, 1, v21
.LBB40_14:                              ;   in Loop: Header=BB40_12 Depth=2
	s_or_b32 exec_lo, exec_lo, s19
	ds_store_b32 v23, v32
	s_waitcnt vmcnt(0)
	ds_store_2addr_b64 v24, v[17:18], v[19:20] offset1:1
	s_waitcnt lgkmcnt(0)
	s_waitcnt_vscnt null, 0x0
	s_barrier
	buffer_gl0_inv
	s_and_saveexec_b32 s19, vcc_lo
	s_cbranch_execz .LBB40_11
; %bb.15:                               ;   in Loop: Header=BB40_12 Depth=2
	v_mov_b32_e32 v17, 0
	s_mov_b32 s20, 0
.LBB40_16:                              ;   Parent Loop BB40_9 Depth=1
                                        ;     Parent Loop BB40_12 Depth=2
                                        ; =>    This Inner Loop Header: Depth=3
	s_delay_alu instid0(SALU_CYCLE_1) | instskip(SKIP_1) | instid1(SALU_CYCLE_1)
	v_add_nc_u32_e64 v18, 0x600, s20
	s_add_i32 s20, s20, 8
	s_cmpk_lg_i32 s20, 0x100
	ds_load_b64 v[18:19], v18
	s_waitcnt lgkmcnt(0)
	v_ashrrev_i32_e32 v22, 31, v18
	v_mul_lo_u32 v32, v18, s5
	v_mad_u64_u32 v[20:21], null, v18, s4, 0
	v_add_nc_u32_e32 v18, 1, v18
	s_delay_alu instid0(VALU_DEP_4) | instskip(NEXT) | instid1(VALU_DEP_1)
	v_mul_lo_u32 v22, v22, s4
	v_add3_u32 v21, v21, v32, v22
	s_delay_alu instid0(VALU_DEP_3) | instskip(SKIP_1) | instid1(VALU_DEP_3)
	v_ashrrev_i32_e32 v22, 31, v18
	v_mul_lo_u32 v32, v18, s5
	v_lshlrev_b64 v[20:21], 3, v[20:21]
	s_delay_alu instid0(VALU_DEP_1) | instskip(NEXT) | instid1(VALU_DEP_1)
	v_add_co_u32 v20, s2, v30, v20
	v_add_co_ci_u32_e64 v21, s2, v31, v21, s2
	global_load_b64 v[36:37], v[20:21], off
	v_mad_u64_u32 v[20:21], null, v18, s4, 0
	v_mul_lo_u32 v18, v22, s4
	v_mul_lo_u32 v22, v19, s5
	s_delay_alu instid0(VALU_DEP_2) | instskip(SKIP_1) | instid1(VALU_DEP_2)
	v_add3_u32 v21, v21, v32, v18
	v_ashrrev_i32_e32 v18, 31, v19
	v_lshlrev_b64 v[20:21], 3, v[20:21]
	s_delay_alu instid0(VALU_DEP_2) | instskip(NEXT) | instid1(VALU_DEP_2)
	v_mul_lo_u32 v18, v18, s4
	v_add_co_u32 v20, s2, v30, v20
	s_delay_alu instid0(VALU_DEP_1) | instskip(SKIP_2) | instid1(VALU_DEP_1)
	v_add_co_ci_u32_e64 v21, s2, v31, v21, s2
	global_load_b64 v[38:39], v[20:21], off
	v_mad_u64_u32 v[20:21], null, v19, s4, 0
	v_add3_u32 v21, v21, v22, v18
	s_delay_alu instid0(VALU_DEP_1) | instskip(NEXT) | instid1(VALU_DEP_1)
	v_lshlrev_b64 v[20:21], 3, v[20:21]
	v_add_co_u32 v20, s2, v30, v20
	s_delay_alu instid0(VALU_DEP_1) | instskip(SKIP_2) | instid1(VALU_DEP_1)
	v_add_co_ci_u32_e64 v21, s2, v31, v21, s2
	global_load_b64 v[40:41], v[20:21], off
	v_add_nc_u32_e32 v20, 1, v19
	v_ashrrev_i32_e32 v21, 31, v20
	v_mul_lo_u32 v22, v20, s5
	v_mad_u64_u32 v[18:19], null, v20, s4, 0
	s_delay_alu instid0(VALU_DEP_3) | instskip(NEXT) | instid1(VALU_DEP_1)
	v_mul_lo_u32 v20, v21, s4
	v_add3_u32 v19, v19, v22, v20
	s_delay_alu instid0(VALU_DEP_1) | instskip(NEXT) | instid1(VALU_DEP_1)
	v_lshlrev_b64 v[18:19], 3, v[18:19]
	v_add_co_u32 v18, s2, v30, v18
	s_delay_alu instid0(VALU_DEP_1)
	v_add_co_ci_u32_e64 v19, s2, v31, v19, s2
	global_load_b64 v[42:43], v[18:19], off
	ds_load_b128 v[18:21], v17
	ds_load_2addr_b64 v[32:35], v17 offset0:3 offset1:4
	v_add_nc_u32_e32 v17, 48, v17
	s_waitcnt vmcnt(3) lgkmcnt(1)
	v_fma_f64 v[11:12], v[18:19], v[36:37], v[11:12]
	s_waitcnt vmcnt(2)
	s_delay_alu instid0(VALU_DEP_1) | instskip(SKIP_1) | instid1(VALU_DEP_1)
	v_fma_f64 v[11:12], v[20:21], v[38:39], v[11:12]
	s_waitcnt vmcnt(1) lgkmcnt(0)
	v_fma_f64 v[11:12], v[32:33], v[40:41], v[11:12]
	s_waitcnt vmcnt(0)
	s_delay_alu instid0(VALU_DEP_1)
	v_fma_f64 v[11:12], v[34:35], v[42:43], v[11:12]
	s_cbranch_scc1 .LBB40_16
	s_branch .LBB40_11
.LBB40_17:                              ;   in Loop: Header=BB40_9 Depth=1
	s_or_b32 exec_lo, exec_lo, s18
.LBB40_18:                              ;   in Loop: Header=BB40_9 Depth=1
	s_delay_alu instid0(SALU_CYCLE_1) | instskip(NEXT) | instid1(SALU_CYCLE_1)
	s_or_b32 exec_lo, exec_lo, s16
	s_mov_b32 s2, exec_lo
	v_cmpx_gt_i32_e64 s22, v9
	s_cbranch_execz .LBB40_8
; %bb.19:                               ;   in Loop: Header=BB40_9 Depth=1
	s_and_saveexec_b32 s16, s0
	s_delay_alu instid0(SALU_CYCLE_1)
	s_xor_b32 s16, exec_lo, s16
	s_cbranch_execz .LBB40_24
; %bb.20:                               ;   in Loop: Header=BB40_9 Depth=1
	s_and_b32 vcc_lo, exec_lo, s3
	s_mov_b32 s18, -1
	s_cbranch_vccz .LBB40_22
; %bb.21:                               ;   in Loop: Header=BB40_9 Depth=1
	v_lshlrev_b64 v[13:14], 3, v[9:10]
	s_delay_alu instid0(VALU_DEP_4) | instskip(SKIP_1) | instid1(VALU_DEP_2)
	v_mul_f64 v[17:18], v[1:2], v[11:12]
	s_mov_b32 s18, 0
	v_add_co_u32 v13, vcc_lo, v25, v13
	s_delay_alu instid0(VALU_DEP_3)
	v_add_co_ci_u32_e32 v14, vcc_lo, v26, v14, vcc_lo
	global_load_b64 v[15:16], v[13:14], off
	s_waitcnt vmcnt(0)
	v_fma_f64 v[15:16], v[3:4], v[15:16], v[17:18]
	global_store_b64 v[13:14], v[15:16], off
.LBB40_22:                              ;   in Loop: Header=BB40_9 Depth=1
	s_and_not1_b32 vcc_lo, exec_lo, s18
	s_cbranch_vccnz .LBB40_24
; %bb.23:                               ;   in Loop: Header=BB40_9 Depth=1
	v_mul_lo_u32 v10, v10, s14
	v_mul_lo_u32 v15, v9, s15
	v_mad_u64_u32 v[13:14], null, v9, s14, 0
	v_mul_f64 v[11:12], v[1:2], v[11:12]
	s_delay_alu instid0(VALU_DEP_2) | instskip(NEXT) | instid1(VALU_DEP_1)
	v_add3_u32 v14, v14, v15, v10
	v_lshlrev_b64 v[9:10], 3, v[13:14]
	s_delay_alu instid0(VALU_DEP_1) | instskip(NEXT) | instid1(VALU_DEP_2)
	v_add_co_u32 v9, vcc_lo, v27, v9
	v_add_co_ci_u32_e32 v10, vcc_lo, v28, v10, vcc_lo
	global_load_b64 v[13:14], v[9:10], off
	s_waitcnt vmcnt(0)
	v_fma_f64 v[11:12], v[3:4], v[13:14], v[11:12]
	global_store_b64 v[9:10], v[11:12], off
                                        ; implicit-def: $vgpr11_vgpr12
                                        ; implicit-def: $vgpr9
.LBB40_24:                              ;   in Loop: Header=BB40_9 Depth=1
	s_and_not1_saveexec_b32 s16, s16
	s_cbranch_execz .LBB40_8
; %bb.25:                               ;   in Loop: Header=BB40_9 Depth=1
	s_delay_alu instid0(VALU_DEP_3)
	v_mul_f64 v[11:12], v[1:2], v[11:12]
	s_and_b32 vcc_lo, exec_lo, s3
	s_mov_b32 s16, -1
	s_cbranch_vccz .LBB40_27
; %bb.26:                               ;   in Loop: Header=BB40_9 Depth=1
	v_lshlrev_b64 v[13:14], 3, v[9:10]
	s_mov_b32 s16, 0
	s_delay_alu instid0(VALU_DEP_1) | instskip(NEXT) | instid1(VALU_DEP_2)
	v_add_co_u32 v13, vcc_lo, v25, v13
	v_add_co_ci_u32_e32 v14, vcc_lo, v26, v14, vcc_lo
	global_store_b64 v[13:14], v[11:12], off
.LBB40_27:                              ;   in Loop: Header=BB40_9 Depth=1
	s_and_not1_b32 vcc_lo, exec_lo, s16
	s_cbranch_vccnz .LBB40_8
; %bb.28:                               ;   in Loop: Header=BB40_9 Depth=1
	v_mul_lo_u32 v10, v10, s14
	v_mul_lo_u32 v15, v9, s15
	v_mad_u64_u32 v[13:14], null, v9, s14, 0
	s_delay_alu instid0(VALU_DEP_1) | instskip(NEXT) | instid1(VALU_DEP_1)
	v_add3_u32 v14, v14, v15, v10
	v_lshlrev_b64 v[9:10], 3, v[13:14]
	s_delay_alu instid0(VALU_DEP_1) | instskip(NEXT) | instid1(VALU_DEP_2)
	v_add_co_u32 v9, vcc_lo, v27, v9
	v_add_co_ci_u32_e32 v10, vcc_lo, v28, v10, vcc_lo
	global_store_b64 v[9:10], v[11:12], off
	s_branch .LBB40_8
.LBB40_29:
	s_nop 0
	s_sendmsg sendmsg(MSG_DEALLOC_VGPRS)
	s_endpgm
	.section	.rodata,"a",@progbits
	.p2align	6, 0x0
	.amdhsa_kernel _ZN9rocsparseL29bsrmmnt_small_blockdim_kernelILj64ELj64ELj2EliddddEEv20rocsparse_direction_T3_S2_llNS_24const_host_device_scalarIT7_EEPKT2_PKS2_PKT4_PKT5_llS5_PT6_ll16rocsparse_order_21rocsparse_index_base_b
		.amdhsa_group_segment_fixed_size 1792
		.amdhsa_private_segment_fixed_size 0
		.amdhsa_kernarg_size 392
		.amdhsa_user_sgpr_count 15
		.amdhsa_user_sgpr_dispatch_ptr 0
		.amdhsa_user_sgpr_queue_ptr 0
		.amdhsa_user_sgpr_kernarg_segment_ptr 1
		.amdhsa_user_sgpr_dispatch_id 0
		.amdhsa_user_sgpr_private_segment_size 0
		.amdhsa_wavefront_size32 1
		.amdhsa_uses_dynamic_stack 0
		.amdhsa_enable_private_segment 0
		.amdhsa_system_sgpr_workgroup_id_x 1
		.amdhsa_system_sgpr_workgroup_id_y 0
		.amdhsa_system_sgpr_workgroup_id_z 0
		.amdhsa_system_sgpr_workgroup_info 0
		.amdhsa_system_vgpr_workitem_id 0
		.amdhsa_next_free_vgpr 44
		.amdhsa_next_free_sgpr 24
		.amdhsa_reserve_vcc 1
		.amdhsa_float_round_mode_32 0
		.amdhsa_float_round_mode_16_64 0
		.amdhsa_float_denorm_mode_32 3
		.amdhsa_float_denorm_mode_16_64 3
		.amdhsa_dx10_clamp 1
		.amdhsa_ieee_mode 1
		.amdhsa_fp16_overflow 0
		.amdhsa_workgroup_processor_mode 1
		.amdhsa_memory_ordered 1
		.amdhsa_forward_progress 0
		.amdhsa_shared_vgpr_count 0
		.amdhsa_exception_fp_ieee_invalid_op 0
		.amdhsa_exception_fp_denorm_src 0
		.amdhsa_exception_fp_ieee_div_zero 0
		.amdhsa_exception_fp_ieee_overflow 0
		.amdhsa_exception_fp_ieee_underflow 0
		.amdhsa_exception_fp_ieee_inexact 0
		.amdhsa_exception_int_div_zero 0
	.end_amdhsa_kernel
	.section	.text._ZN9rocsparseL29bsrmmnt_small_blockdim_kernelILj64ELj64ELj2EliddddEEv20rocsparse_direction_T3_S2_llNS_24const_host_device_scalarIT7_EEPKT2_PKS2_PKT4_PKT5_llS5_PT6_ll16rocsparse_order_21rocsparse_index_base_b,"axG",@progbits,_ZN9rocsparseL29bsrmmnt_small_blockdim_kernelILj64ELj64ELj2EliddddEEv20rocsparse_direction_T3_S2_llNS_24const_host_device_scalarIT7_EEPKT2_PKS2_PKT4_PKT5_llS5_PT6_ll16rocsparse_order_21rocsparse_index_base_b,comdat
.Lfunc_end40:
	.size	_ZN9rocsparseL29bsrmmnt_small_blockdim_kernelILj64ELj64ELj2EliddddEEv20rocsparse_direction_T3_S2_llNS_24const_host_device_scalarIT7_EEPKT2_PKS2_PKT4_PKT5_llS5_PT6_ll16rocsparse_order_21rocsparse_index_base_b, .Lfunc_end40-_ZN9rocsparseL29bsrmmnt_small_blockdim_kernelILj64ELj64ELj2EliddddEEv20rocsparse_direction_T3_S2_llNS_24const_host_device_scalarIT7_EEPKT2_PKS2_PKT4_PKT5_llS5_PT6_ll16rocsparse_order_21rocsparse_index_base_b
                                        ; -- End function
	.section	.AMDGPU.csdata,"",@progbits
; Kernel info:
; codeLenInByte = 1720
; NumSgprs: 26
; NumVgprs: 44
; ScratchSize: 0
; MemoryBound: 0
; FloatMode: 240
; IeeeMode: 1
; LDSByteSize: 1792 bytes/workgroup (compile time only)
; SGPRBlocks: 3
; VGPRBlocks: 5
; NumSGPRsForWavesPerEU: 26
; NumVGPRsForWavesPerEU: 44
; Occupancy: 16
; WaveLimiterHint : 1
; COMPUTE_PGM_RSRC2:SCRATCH_EN: 0
; COMPUTE_PGM_RSRC2:USER_SGPR: 15
; COMPUTE_PGM_RSRC2:TRAP_HANDLER: 0
; COMPUTE_PGM_RSRC2:TGID_X_EN: 1
; COMPUTE_PGM_RSRC2:TGID_Y_EN: 0
; COMPUTE_PGM_RSRC2:TGID_Z_EN: 0
; COMPUTE_PGM_RSRC2:TIDIG_COMP_CNT: 0
	.section	.text._ZN9rocsparseL29bsrmmnt_small_blockdim_kernelILj64ELj8ELj2EllddddEEv20rocsparse_direction_T3_S2_llNS_24const_host_device_scalarIT7_EEPKT2_PKS2_PKT4_PKT5_llS5_PT6_ll16rocsparse_order_21rocsparse_index_base_b,"axG",@progbits,_ZN9rocsparseL29bsrmmnt_small_blockdim_kernelILj64ELj8ELj2EllddddEEv20rocsparse_direction_T3_S2_llNS_24const_host_device_scalarIT7_EEPKT2_PKS2_PKT4_PKT5_llS5_PT6_ll16rocsparse_order_21rocsparse_index_base_b,comdat
	.globl	_ZN9rocsparseL29bsrmmnt_small_blockdim_kernelILj64ELj8ELj2EllddddEEv20rocsparse_direction_T3_S2_llNS_24const_host_device_scalarIT7_EEPKT2_PKS2_PKT4_PKT5_llS5_PT6_ll16rocsparse_order_21rocsparse_index_base_b ; -- Begin function _ZN9rocsparseL29bsrmmnt_small_blockdim_kernelILj64ELj8ELj2EllddddEEv20rocsparse_direction_T3_S2_llNS_24const_host_device_scalarIT7_EEPKT2_PKS2_PKT4_PKT5_llS5_PT6_ll16rocsparse_order_21rocsparse_index_base_b
	.p2align	8
	.type	_ZN9rocsparseL29bsrmmnt_small_blockdim_kernelILj64ELj8ELj2EllddddEEv20rocsparse_direction_T3_S2_llNS_24const_host_device_scalarIT7_EEPKT2_PKS2_PKT4_PKT5_llS5_PT6_ll16rocsparse_order_21rocsparse_index_base_b,@function
_ZN9rocsparseL29bsrmmnt_small_blockdim_kernelILj64ELj8ELj2EllddddEEv20rocsparse_direction_T3_S2_llNS_24const_host_device_scalarIT7_EEPKT2_PKS2_PKT4_PKT5_llS5_PT6_ll16rocsparse_order_21rocsparse_index_base_b: ; @_ZN9rocsparseL29bsrmmnt_small_blockdim_kernelILj64ELj8ELj2EllddddEEv20rocsparse_direction_T3_S2_llNS_24const_host_device_scalarIT7_EEPKT2_PKS2_PKT4_PKT5_llS5_PT6_ll16rocsparse_order_21rocsparse_index_base_b
; %bb.0:
	s_clause 0x2
	s_load_b128 s[20:23], s[0:1], 0x80
	s_load_b64 s[4:5], s[0:1], 0x28
	s_load_b64 s[2:3], s[0:1], 0x60
	s_waitcnt lgkmcnt(0)
	s_bitcmp1_b32 s22, 0
	v_dual_mov_b32 v1, s4 :: v_dual_mov_b32 v2, s5
	s_cselect_b32 s6, -1, 0
	s_delay_alu instid0(SALU_CYCLE_1)
	s_and_b32 vcc_lo, exec_lo, s6
	s_xor_b32 s6, s6, -1
	s_cbranch_vccnz .LBB41_2
; %bb.1:
	v_dual_mov_b32 v1, s4 :: v_dual_mov_b32 v2, s5
	flat_load_b64 v[1:2], v[1:2]
.LBB41_2:
	v_dual_mov_b32 v4, s3 :: v_dual_mov_b32 v3, s2
	s_and_not1_b32 vcc_lo, exec_lo, s6
	s_cbranch_vccnz .LBB41_4
; %bb.3:
	v_dual_mov_b32 v4, s3 :: v_dual_mov_b32 v3, s2
	flat_load_b64 v[3:4], v[3:4]
.LBB41_4:
	s_waitcnt vmcnt(0) lgkmcnt(0)
	v_cmp_neq_f64_e32 vcc_lo, 0, v[1:2]
	v_cmp_neq_f64_e64 s2, 1.0, v[3:4]
	s_delay_alu instid0(VALU_DEP_1) | instskip(NEXT) | instid1(SALU_CYCLE_1)
	s_or_b32 s2, vcc_lo, s2
	s_and_saveexec_b32 s3, s2
	s_cbranch_execz .LBB41_29
; %bb.5:
	s_clause 0x1
	s_load_b32 s2, s[0:1], 0x9c
	s_load_b128 s[16:19], s[0:1], 0x8
	v_mov_b32_e32 v7, 0
	s_waitcnt lgkmcnt(0)
	s_and_b32 s2, s2, 0xffff
	s_delay_alu instid0(SALU_CYCLE_1) | instskip(NEXT) | instid1(VALU_DEP_1)
	v_mad_u64_u32 v[5:6], null, s15, s2, v[0:1]
	v_lshrrev_b32_e32 v6, 4, v5
	s_delay_alu instid0(VALU_DEP_1)
	v_cmp_gt_i64_e32 vcc_lo, s[16:17], v[6:7]
	s_and_b32 exec_lo, exec_lo, vcc_lo
	s_cbranch_execz .LBB41_29
; %bb.6:
	v_cmp_lt_i64_e64 s2, s[18:19], 1
	s_delay_alu instid0(VALU_DEP_1)
	s_and_b32 vcc_lo, exec_lo, s2
	s_cbranch_vccnz .LBB41_29
; %bb.7:
	s_load_b256 s[4:11], s[0:1], 0x30
	v_dual_mov_b32 v9, 0 :: v_dual_lshlrev_b32 v6, 3, v6
	s_load_b128 s[12:15], s[0:1], 0x68
	v_lshrrev_b32_e32 v10, 3, v5
	v_bfe_u32 v8, v5, 3, 1
	v_and_b32_e32 v27, 7, v0
	s_cmp_lg_u32 s20, 1
	v_lshrrev_b32_e32 v17, 3, v0
	s_cselect_b32 s20, -1, 0
	s_mov_b32 s3, s21
	s_mov_b64 s[16:17], 0
	s_delay_alu instid0(VALU_DEP_1) | instskip(SKIP_1) | instid1(VALU_DEP_2)
	v_lshl_or_b32 v0, v17, 6, 0x600
	v_mul_u32_u24_e32 v28, 0xc0, v17
	v_lshl_or_b32 v29, v27, 3, v0
	s_waitcnt lgkmcnt(0)
	global_load_b128 v[11:14], v6, s[4:5]
	s_clause 0x1
	s_load_b64 s[4:5], s[0:1], 0x50
	s_load_b32 s1, s[0:1], 0x0
	v_mad_u64_u32 v[6:7], null, v10, s14, 0
	v_cmp_neq_f64_e64 s0, 0, v[3:4]
	s_delay_alu instid0(VALU_DEP_2) | instskip(SKIP_2) | instid1(VALU_DEP_3)
	v_mad_u64_u32 v[15:16], null, v10, s15, v[7:8]
	v_and_b32_e32 v18, -8, v5
	v_mul_u32_u24_e32 v5, 3, v27
	v_mov_b32_e32 v7, v15
	s_delay_alu instid0(VALU_DEP_2) | instskip(SKIP_2) | instid1(VALU_DEP_2)
	v_lshlrev_b32_e32 v5, 3, v5
	s_waitcnt lgkmcnt(0)
	s_cmp_eq_u32 s1, 0
	v_lshlrev_b64 v[15:16], 3, v[6:7]
	s_cselect_b32 s2, -1, 0
	v_mad_u32_u24 v30, 0xc0, v17, v5
	v_cndmask_b32_e64 v10, 0, 1, s2
	s_and_b32 s2, s2, exec_lo
	s_delay_alu instid0(VALU_DEP_3) | instskip(SKIP_1) | instid1(VALU_DEP_3)
	v_add_co_u32 v31, vcc_lo, s12, v15
	v_add_co_ci_u32_e32 v32, vcc_lo, s13, v16, vcc_lo
	v_lshlrev_b64 v[5:6], v10, v[8:9]
	v_add_co_u32 v33, s12, s12, v18
	s_delay_alu instid0(VALU_DEP_1)
	v_add_co_ci_u32_e64 v34, null, s13, 0, s12
	s_waitcnt vmcnt(0)
	v_sub_co_u32 v7, vcc_lo, v11, s21
	v_subrev_co_ci_u32_e32 v8, vcc_lo, 0, v12, vcc_lo
	v_sub_co_u32 v9, vcc_lo, v13, s21
	v_cmp_lt_i64_e64 s1, v[11:12], v[13:14]
	v_subrev_co_ci_u32_e32 v10, vcc_lo, 0, v14, vcc_lo
	s_cselect_b32 s21, 1, 2
	s_lshl_b64 s[12:13], s[4:5], 3
	s_branch .LBB41_9
.LBB41_8:                               ;   in Loop: Header=BB41_9 Depth=1
	s_or_b32 exec_lo, exec_lo, s2
	s_add_u32 s16, s16, 8
	s_addc_u32 s17, s17, 0
	s_delay_alu instid0(SALU_CYCLE_1) | instskip(NEXT) | instid1(VALU_DEP_1)
	v_cmp_lt_i64_e64 s2, s[16:17], s[18:19]
	s_and_b32 vcc_lo, exec_lo, s2
	s_cbranch_vccz .LBB41_29
.LBB41_9:                               ; =>This Loop Header: Depth=1
                                        ;     Child Loop BB41_12 Depth 2
                                        ;       Child Loop BB41_16 Depth 3
	v_mov_b32_e32 v13, 0
	v_or_b32_e64 v12, s17, 0
	v_mov_b32_e32 v14, 0
	v_or_b32_e32 v11, s16, v27
	s_and_saveexec_b32 s22, s1
	s_cbranch_execz .LBB41_18
; %bb.10:                               ;   in Loop: Header=BB41_9 Depth=1
	s_delay_alu instid0(VALU_DEP_1) | instskip(SKIP_3) | instid1(VALU_DEP_4)
	v_lshlrev_b64 v[13:14], 3, v[11:12]
	v_dual_mov_b32 v15, 0 :: v_dual_mov_b32 v18, v8
	v_dual_mov_b32 v16, 0 :: v_dual_mov_b32 v17, v7
	v_cmp_gt_i64_e32 vcc_lo, s[18:19], v[11:12]
	v_add_co_u32 v35, s2, s10, v13
	s_delay_alu instid0(VALU_DEP_1) | instskip(NEXT) | instid1(VALU_DEP_4)
	v_add_co_ci_u32_e64 v36, s2, s11, v14, s2
	v_dual_mov_b32 v13, v15 :: v_dual_mov_b32 v14, v16
	s_mov_b32 s23, 0
	s_branch .LBB41_12
.LBB41_11:                              ;   in Loop: Header=BB41_12 Depth=2
	s_or_b32 exec_lo, exec_lo, s24
	v_add_co_u32 v17, s2, v17, 8
	s_delay_alu instid0(VALU_DEP_1) | instskip(NEXT) | instid1(VALU_DEP_1)
	v_add_co_ci_u32_e64 v18, s2, 0, v18, s2
	v_cmp_ge_i64_e64 s2, v[17:18], v[9:10]
	s_delay_alu instid0(VALU_DEP_1) | instskip(NEXT) | instid1(SALU_CYCLE_1)
	s_or_b32 s23, s2, s23
	s_and_not1_b32 exec_lo, exec_lo, s23
	s_cbranch_execz .LBB41_17
.LBB41_12:                              ;   Parent Loop BB41_9 Depth=1
                                        ; =>  This Loop Header: Depth=2
                                        ;       Child Loop BB41_16 Depth 3
	v_add_co_u32 v21, s2, v17, v27
	s_delay_alu instid0(VALU_DEP_1)
	v_add_co_ci_u32_e64 v22, s2, 0, v18, s2
	v_dual_mov_b32 v26, v16 :: v_dual_mov_b32 v25, v15
	v_dual_mov_b32 v20, v16 :: v_dual_mov_b32 v19, v15
	;; [unrolled: 1-line block ×3, first 2 shown]
	s_mov_b32 s24, exec_lo
	v_cmpx_lt_i64_e64 v[21:22], v[9:10]
	s_cbranch_execz .LBB41_14
; %bb.13:                               ;   in Loop: Header=BB41_12 Depth=2
	v_lshlrev_b64 v[19:20], 2, v[21:22]
	v_lshlrev_b64 v[21:22], 3, v[21:22]
	s_delay_alu instid0(VALU_DEP_2) | instskip(NEXT) | instid1(VALU_DEP_3)
	v_or_b32_e32 v20, v20, v6
	v_or_b32_e32 v19, v19, v5
	s_delay_alu instid0(VALU_DEP_3) | instskip(NEXT) | instid1(VALU_DEP_1)
	v_add_co_u32 v21, s2, s6, v21
	v_add_co_ci_u32_e64 v22, s2, s7, v22, s2
	s_delay_alu instid0(VALU_DEP_4) | instskip(NEXT) | instid1(VALU_DEP_4)
	v_or_b32_e32 v24, 0, v20
	v_or_b32_e32 v23, s21, v19
	v_lshlrev_b64 v[19:20], 3, v[19:20]
	global_load_b64 v[21:22], v[21:22], off
	v_lshlrev_b64 v[23:24], 3, v[23:24]
	v_add_co_u32 v19, s2, s8, v19
	s_delay_alu instid0(VALU_DEP_1) | instskip(NEXT) | instid1(VALU_DEP_3)
	v_add_co_ci_u32_e64 v20, s2, s9, v20, s2
	v_add_co_u32 v23, s2, s8, v23
	s_delay_alu instid0(VALU_DEP_1)
	v_add_co_ci_u32_e64 v24, s2, s9, v24, s2
	s_clause 0x1
	global_load_b64 v[19:20], v[19:20], off
	global_load_b64 v[23:24], v[23:24], off
	s_waitcnt vmcnt(2)
	v_sub_co_u32 v21, s2, v21, s3
	s_delay_alu instid0(VALU_DEP_1) | instskip(NEXT) | instid1(VALU_DEP_1)
	v_subrev_co_ci_u32_e64 v22, s2, 0, v22, s2
	v_lshlrev_b64 v[25:26], 1, v[21:22]
.LBB41_14:                              ;   in Loop: Header=BB41_12 Depth=2
	s_or_b32 exec_lo, exec_lo, s24
	ds_store_b64 v29, v[25:26]
	s_waitcnt vmcnt(0)
	ds_store_2addr_b64 v30, v[19:20], v[23:24] offset1:1
	s_waitcnt lgkmcnt(0)
	s_waitcnt_vscnt null, 0x0
	s_barrier
	buffer_gl0_inv
	s_and_saveexec_b32 s24, vcc_lo
	s_cbranch_execz .LBB41_11
; %bb.15:                               ;   in Loop: Header=BB41_12 Depth=2
	v_mov_b32_e32 v19, v28
	s_mov_b32 s25, 0
.LBB41_16:                              ;   Parent Loop BB41_9 Depth=1
                                        ;     Parent Loop BB41_12 Depth=2
                                        ; =>    This Inner Loop Header: Depth=3
	s_delay_alu instid0(SALU_CYCLE_1) | instskip(SKIP_1) | instid1(SALU_CYCLE_1)
	v_add_nc_u32_e32 v20, s25, v0
	s_add_i32 s25, s25, 16
	s_cmp_lg_u32 s25, 64
	ds_load_b128 v[20:23], v20
	s_waitcnt lgkmcnt(0)
	v_mul_lo_u32 v21, v21, s4
	v_mul_lo_u32 v26, v20, s5
	v_mad_u64_u32 v[24:25], null, v20, s4, 0
	v_mul_lo_u32 v23, v23, s4
	s_delay_alu instid0(VALU_DEP_2) | instskip(SKIP_1) | instid1(VALU_DEP_2)
	v_add3_u32 v25, v25, v26, v21
	v_mul_lo_u32 v26, v22, s5
	v_lshlrev_b64 v[20:21], 3, v[24:25]
	s_delay_alu instid0(VALU_DEP_1) | instskip(NEXT) | instid1(VALU_DEP_1)
	v_add_co_u32 v20, s2, v35, v20
	v_add_co_ci_u32_e64 v21, s2, v36, v21, s2
	global_load_b64 v[24:25], v[20:21], off
	v_add_co_u32 v20, s2, v20, s12
	s_delay_alu instid0(VALU_DEP_1) | instskip(SKIP_2) | instid1(VALU_DEP_1)
	v_add_co_ci_u32_e64 v21, s2, s13, v21, s2
	global_load_b64 v[41:42], v[20:21], off
	v_mad_u64_u32 v[20:21], null, v22, s4, 0
	v_add3_u32 v21, v21, v26, v23
	s_delay_alu instid0(VALU_DEP_1) | instskip(NEXT) | instid1(VALU_DEP_1)
	v_lshlrev_b64 v[20:21], 3, v[20:21]
	v_add_co_u32 v20, s2, v35, v20
	s_delay_alu instid0(VALU_DEP_1) | instskip(SKIP_2) | instid1(VALU_DEP_1)
	v_add_co_ci_u32_e64 v21, s2, v36, v21, s2
	global_load_b64 v[43:44], v[20:21], off
	v_add_co_u32 v20, s2, v20, s12
	v_add_co_ci_u32_e64 v21, s2, s13, v21, s2
	global_load_b64 v[45:46], v[20:21], off
	ds_load_b128 v[20:23], v19
	ds_load_2addr_b64 v[37:40], v19 offset0:3 offset1:4
	v_add_nc_u32_e32 v19, 48, v19
	s_waitcnt vmcnt(3) lgkmcnt(1)
	v_fma_f64 v[13:14], v[20:21], v[24:25], v[13:14]
	s_waitcnt vmcnt(2)
	s_delay_alu instid0(VALU_DEP_1) | instskip(SKIP_1) | instid1(VALU_DEP_1)
	v_fma_f64 v[13:14], v[22:23], v[41:42], v[13:14]
	s_waitcnt vmcnt(1) lgkmcnt(0)
	v_fma_f64 v[13:14], v[37:38], v[43:44], v[13:14]
	s_waitcnt vmcnt(0)
	s_delay_alu instid0(VALU_DEP_1)
	v_fma_f64 v[13:14], v[39:40], v[45:46], v[13:14]
	s_cbranch_scc1 .LBB41_16
	s_branch .LBB41_11
.LBB41_17:                              ;   in Loop: Header=BB41_9 Depth=1
	s_or_b32 exec_lo, exec_lo, s23
.LBB41_18:                              ;   in Loop: Header=BB41_9 Depth=1
	s_delay_alu instid0(SALU_CYCLE_1) | instskip(NEXT) | instid1(SALU_CYCLE_1)
	s_or_b32 exec_lo, exec_lo, s22
	s_mov_b32 s2, exec_lo
	v_cmpx_gt_i64_e64 s[18:19], v[11:12]
	s_cbranch_execz .LBB41_8
; %bb.19:                               ;   in Loop: Header=BB41_9 Depth=1
	s_and_saveexec_b32 s22, s0
	s_delay_alu instid0(SALU_CYCLE_1)
	s_xor_b32 s22, exec_lo, s22
	s_cbranch_execz .LBB41_24
; %bb.20:                               ;   in Loop: Header=BB41_9 Depth=1
	s_and_b32 vcc_lo, exec_lo, s20
	s_mov_b32 s23, -1
	s_cbranch_vccz .LBB41_22
; %bb.21:                               ;   in Loop: Header=BB41_9 Depth=1
	v_lshlrev_b64 v[15:16], 3, v[11:12]
	s_delay_alu instid0(VALU_DEP_4) | instskip(SKIP_1) | instid1(VALU_DEP_2)
	v_mul_f64 v[19:20], v[1:2], v[13:14]
	s_mov_b32 s23, 0
	v_add_co_u32 v15, vcc_lo, v31, v15
	s_delay_alu instid0(VALU_DEP_3)
	v_add_co_ci_u32_e32 v16, vcc_lo, v32, v16, vcc_lo
	global_load_b64 v[17:18], v[15:16], off
	s_waitcnt vmcnt(0)
	v_fma_f64 v[17:18], v[3:4], v[17:18], v[19:20]
	global_store_b64 v[15:16], v[17:18], off
.LBB41_22:                              ;   in Loop: Header=BB41_9 Depth=1
	s_and_not1_b32 vcc_lo, exec_lo, s23
	s_cbranch_vccnz .LBB41_24
; %bb.23:                               ;   in Loop: Header=BB41_9 Depth=1
	v_mul_lo_u32 v12, v12, s14
	v_mul_lo_u32 v17, v11, s15
	v_mad_u64_u32 v[15:16], null, v11, s14, 0
	v_mul_f64 v[13:14], v[1:2], v[13:14]
	s_delay_alu instid0(VALU_DEP_2) | instskip(NEXT) | instid1(VALU_DEP_1)
	v_add3_u32 v16, v16, v17, v12
	v_lshlrev_b64 v[11:12], 3, v[15:16]
	s_delay_alu instid0(VALU_DEP_1) | instskip(NEXT) | instid1(VALU_DEP_2)
	v_add_co_u32 v11, vcc_lo, v33, v11
	v_add_co_ci_u32_e32 v12, vcc_lo, v34, v12, vcc_lo
	global_load_b64 v[15:16], v[11:12], off
	s_waitcnt vmcnt(0)
	v_fma_f64 v[13:14], v[3:4], v[15:16], v[13:14]
	global_store_b64 v[11:12], v[13:14], off
                                        ; implicit-def: $vgpr11_vgpr12
                                        ; implicit-def: $vgpr13_vgpr14
.LBB41_24:                              ;   in Loop: Header=BB41_9 Depth=1
	s_and_not1_saveexec_b32 s22, s22
	s_cbranch_execz .LBB41_8
; %bb.25:                               ;   in Loop: Header=BB41_9 Depth=1
	s_delay_alu instid0(VALU_DEP_3)
	v_mul_f64 v[13:14], v[1:2], v[13:14]
	s_and_b32 vcc_lo, exec_lo, s20
	s_mov_b32 s22, -1
	s_cbranch_vccz .LBB41_27
; %bb.26:                               ;   in Loop: Header=BB41_9 Depth=1
	v_lshlrev_b64 v[15:16], 3, v[11:12]
	s_mov_b32 s22, 0
	s_delay_alu instid0(VALU_DEP_1) | instskip(NEXT) | instid1(VALU_DEP_2)
	v_add_co_u32 v15, vcc_lo, v31, v15
	v_add_co_ci_u32_e32 v16, vcc_lo, v32, v16, vcc_lo
	global_store_b64 v[15:16], v[13:14], off
.LBB41_27:                              ;   in Loop: Header=BB41_9 Depth=1
	s_and_not1_b32 vcc_lo, exec_lo, s22
	s_cbranch_vccnz .LBB41_8
; %bb.28:                               ;   in Loop: Header=BB41_9 Depth=1
	v_mul_lo_u32 v12, v12, s14
	v_mul_lo_u32 v17, v11, s15
	v_mad_u64_u32 v[15:16], null, v11, s14, 0
	s_delay_alu instid0(VALU_DEP_1) | instskip(NEXT) | instid1(VALU_DEP_1)
	v_add3_u32 v16, v16, v17, v12
	v_lshlrev_b64 v[11:12], 3, v[15:16]
	s_delay_alu instid0(VALU_DEP_1) | instskip(NEXT) | instid1(VALU_DEP_2)
	v_add_co_u32 v11, vcc_lo, v33, v11
	v_add_co_ci_u32_e32 v12, vcc_lo, v34, v12, vcc_lo
	global_store_b64 v[11:12], v[13:14], off
	s_branch .LBB41_8
.LBB41_29:
	s_nop 0
	s_sendmsg sendmsg(MSG_DEALLOC_VGPRS)
	s_endpgm
	.section	.rodata,"a",@progbits
	.p2align	6, 0x0
	.amdhsa_kernel _ZN9rocsparseL29bsrmmnt_small_blockdim_kernelILj64ELj8ELj2EllddddEEv20rocsparse_direction_T3_S2_llNS_24const_host_device_scalarIT7_EEPKT2_PKS2_PKT4_PKT5_llS5_PT6_ll16rocsparse_order_21rocsparse_index_base_b
		.amdhsa_group_segment_fixed_size 2048
		.amdhsa_private_segment_fixed_size 0
		.amdhsa_kernarg_size 400
		.amdhsa_user_sgpr_count 15
		.amdhsa_user_sgpr_dispatch_ptr 0
		.amdhsa_user_sgpr_queue_ptr 0
		.amdhsa_user_sgpr_kernarg_segment_ptr 1
		.amdhsa_user_sgpr_dispatch_id 0
		.amdhsa_user_sgpr_private_segment_size 0
		.amdhsa_wavefront_size32 1
		.amdhsa_uses_dynamic_stack 0
		.amdhsa_enable_private_segment 0
		.amdhsa_system_sgpr_workgroup_id_x 1
		.amdhsa_system_sgpr_workgroup_id_y 0
		.amdhsa_system_sgpr_workgroup_id_z 0
		.amdhsa_system_sgpr_workgroup_info 0
		.amdhsa_system_vgpr_workitem_id 0
		.amdhsa_next_free_vgpr 47
		.amdhsa_next_free_sgpr 26
		.amdhsa_reserve_vcc 1
		.amdhsa_float_round_mode_32 0
		.amdhsa_float_round_mode_16_64 0
		.amdhsa_float_denorm_mode_32 3
		.amdhsa_float_denorm_mode_16_64 3
		.amdhsa_dx10_clamp 1
		.amdhsa_ieee_mode 1
		.amdhsa_fp16_overflow 0
		.amdhsa_workgroup_processor_mode 1
		.amdhsa_memory_ordered 1
		.amdhsa_forward_progress 0
		.amdhsa_shared_vgpr_count 0
		.amdhsa_exception_fp_ieee_invalid_op 0
		.amdhsa_exception_fp_denorm_src 0
		.amdhsa_exception_fp_ieee_div_zero 0
		.amdhsa_exception_fp_ieee_overflow 0
		.amdhsa_exception_fp_ieee_underflow 0
		.amdhsa_exception_fp_ieee_inexact 0
		.amdhsa_exception_int_div_zero 0
	.end_amdhsa_kernel
	.section	.text._ZN9rocsparseL29bsrmmnt_small_blockdim_kernelILj64ELj8ELj2EllddddEEv20rocsparse_direction_T3_S2_llNS_24const_host_device_scalarIT7_EEPKT2_PKS2_PKT4_PKT5_llS5_PT6_ll16rocsparse_order_21rocsparse_index_base_b,"axG",@progbits,_ZN9rocsparseL29bsrmmnt_small_blockdim_kernelILj64ELj8ELj2EllddddEEv20rocsparse_direction_T3_S2_llNS_24const_host_device_scalarIT7_EEPKT2_PKS2_PKT4_PKT5_llS5_PT6_ll16rocsparse_order_21rocsparse_index_base_b,comdat
.Lfunc_end41:
	.size	_ZN9rocsparseL29bsrmmnt_small_blockdim_kernelILj64ELj8ELj2EllddddEEv20rocsparse_direction_T3_S2_llNS_24const_host_device_scalarIT7_EEPKT2_PKS2_PKT4_PKT5_llS5_PT6_ll16rocsparse_order_21rocsparse_index_base_b, .Lfunc_end41-_ZN9rocsparseL29bsrmmnt_small_blockdim_kernelILj64ELj8ELj2EllddddEEv20rocsparse_direction_T3_S2_llNS_24const_host_device_scalarIT7_EEPKT2_PKS2_PKT4_PKT5_llS5_PT6_ll16rocsparse_order_21rocsparse_index_base_b
                                        ; -- End function
	.section	.AMDGPU.csdata,"",@progbits
; Kernel info:
; codeLenInByte = 1708
; NumSgprs: 28
; NumVgprs: 47
; ScratchSize: 0
; MemoryBound: 0
; FloatMode: 240
; IeeeMode: 1
; LDSByteSize: 2048 bytes/workgroup (compile time only)
; SGPRBlocks: 3
; VGPRBlocks: 5
; NumSGPRsForWavesPerEU: 28
; NumVGPRsForWavesPerEU: 47
; Occupancy: 16
; WaveLimiterHint : 1
; COMPUTE_PGM_RSRC2:SCRATCH_EN: 0
; COMPUTE_PGM_RSRC2:USER_SGPR: 15
; COMPUTE_PGM_RSRC2:TRAP_HANDLER: 0
; COMPUTE_PGM_RSRC2:TGID_X_EN: 1
; COMPUTE_PGM_RSRC2:TGID_Y_EN: 0
; COMPUTE_PGM_RSRC2:TGID_Z_EN: 0
; COMPUTE_PGM_RSRC2:TIDIG_COMP_CNT: 0
	.section	.text._ZN9rocsparseL29bsrmmnt_small_blockdim_kernelILj64ELj16ELj2EllddddEEv20rocsparse_direction_T3_S2_llNS_24const_host_device_scalarIT7_EEPKT2_PKS2_PKT4_PKT5_llS5_PT6_ll16rocsparse_order_21rocsparse_index_base_b,"axG",@progbits,_ZN9rocsparseL29bsrmmnt_small_blockdim_kernelILj64ELj16ELj2EllddddEEv20rocsparse_direction_T3_S2_llNS_24const_host_device_scalarIT7_EEPKT2_PKS2_PKT4_PKT5_llS5_PT6_ll16rocsparse_order_21rocsparse_index_base_b,comdat
	.globl	_ZN9rocsparseL29bsrmmnt_small_blockdim_kernelILj64ELj16ELj2EllddddEEv20rocsparse_direction_T3_S2_llNS_24const_host_device_scalarIT7_EEPKT2_PKS2_PKT4_PKT5_llS5_PT6_ll16rocsparse_order_21rocsparse_index_base_b ; -- Begin function _ZN9rocsparseL29bsrmmnt_small_blockdim_kernelILj64ELj16ELj2EllddddEEv20rocsparse_direction_T3_S2_llNS_24const_host_device_scalarIT7_EEPKT2_PKS2_PKT4_PKT5_llS5_PT6_ll16rocsparse_order_21rocsparse_index_base_b
	.p2align	8
	.type	_ZN9rocsparseL29bsrmmnt_small_blockdim_kernelILj64ELj16ELj2EllddddEEv20rocsparse_direction_T3_S2_llNS_24const_host_device_scalarIT7_EEPKT2_PKS2_PKT4_PKT5_llS5_PT6_ll16rocsparse_order_21rocsparse_index_base_b,@function
_ZN9rocsparseL29bsrmmnt_small_blockdim_kernelILj64ELj16ELj2EllddddEEv20rocsparse_direction_T3_S2_llNS_24const_host_device_scalarIT7_EEPKT2_PKS2_PKT4_PKT5_llS5_PT6_ll16rocsparse_order_21rocsparse_index_base_b: ; @_ZN9rocsparseL29bsrmmnt_small_blockdim_kernelILj64ELj16ELj2EllddddEEv20rocsparse_direction_T3_S2_llNS_24const_host_device_scalarIT7_EEPKT2_PKS2_PKT4_PKT5_llS5_PT6_ll16rocsparse_order_21rocsparse_index_base_b
; %bb.0:
	s_clause 0x2
	s_load_b128 s[20:23], s[0:1], 0x80
	s_load_b64 s[4:5], s[0:1], 0x28
	s_load_b64 s[2:3], s[0:1], 0x60
	s_waitcnt lgkmcnt(0)
	s_bitcmp1_b32 s22, 0
	v_dual_mov_b32 v1, s4 :: v_dual_mov_b32 v2, s5
	s_cselect_b32 s6, -1, 0
	s_delay_alu instid0(SALU_CYCLE_1)
	s_and_b32 vcc_lo, exec_lo, s6
	s_xor_b32 s6, s6, -1
	s_cbranch_vccnz .LBB42_2
; %bb.1:
	v_dual_mov_b32 v1, s4 :: v_dual_mov_b32 v2, s5
	flat_load_b64 v[1:2], v[1:2]
.LBB42_2:
	v_dual_mov_b32 v4, s3 :: v_dual_mov_b32 v3, s2
	s_and_not1_b32 vcc_lo, exec_lo, s6
	s_cbranch_vccnz .LBB42_4
; %bb.3:
	v_dual_mov_b32 v4, s3 :: v_dual_mov_b32 v3, s2
	flat_load_b64 v[3:4], v[3:4]
.LBB42_4:
	s_waitcnt vmcnt(0) lgkmcnt(0)
	v_cmp_neq_f64_e32 vcc_lo, 0, v[1:2]
	v_cmp_neq_f64_e64 s2, 1.0, v[3:4]
	s_delay_alu instid0(VALU_DEP_1) | instskip(NEXT) | instid1(SALU_CYCLE_1)
	s_or_b32 s2, vcc_lo, s2
	s_and_saveexec_b32 s3, s2
	s_cbranch_execz .LBB42_29
; %bb.5:
	s_clause 0x1
	s_load_b32 s2, s[0:1], 0x9c
	s_load_b128 s[16:19], s[0:1], 0x8
	v_mov_b32_e32 v7, 0
	s_waitcnt lgkmcnt(0)
	s_and_b32 s2, s2, 0xffff
	s_delay_alu instid0(SALU_CYCLE_1) | instskip(NEXT) | instid1(VALU_DEP_1)
	v_mad_u64_u32 v[5:6], null, s15, s2, v[0:1]
	v_lshrrev_b32_e32 v6, 5, v5
	s_delay_alu instid0(VALU_DEP_1)
	v_cmp_gt_i64_e32 vcc_lo, s[16:17], v[6:7]
	s_and_b32 exec_lo, exec_lo, vcc_lo
	s_cbranch_execz .LBB42_29
; %bb.6:
	v_cmp_lt_i64_e64 s2, s[18:19], 1
	s_delay_alu instid0(VALU_DEP_1)
	s_and_b32 vcc_lo, exec_lo, s2
	s_cbranch_vccnz .LBB42_29
; %bb.7:
	s_load_b256 s[4:11], s[0:1], 0x30
	v_lshlrev_b32_e32 v6, 3, v6
	s_load_b128 s[12:15], s[0:1], 0x68
	v_lshrrev_b32_e32 v10, 4, v5
	v_bfe_u32 v8, v5, 4, 1
	v_and_b32_e32 v27, 15, v0
	s_cmp_lg_u32 s20, 1
	v_lshrrev_b32_e32 v17, 4, v0
	s_cselect_b32 s20, -1, 0
	v_mov_b32_e32 v9, 0
	v_lshlrev_b32_e32 v19, 3, v10
	s_mov_b32 s3, s21
	v_lshl_or_b32 v0, v17, 7, 0x600
	v_mul_u32_u24_e32 v28, 0x180, v17
	s_mov_b64 s[16:17], 0
	s_delay_alu instid0(VALU_DEP_2)
	v_lshl_or_b32 v29, v27, 3, v0
	s_waitcnt lgkmcnt(0)
	global_load_b128 v[11:14], v6, s[4:5]
	s_load_b64 s[4:5], s[0:1], 0x50
	v_mad_u64_u32 v[6:7], null, v10, s14, 0
	s_load_b32 s1, s[0:1], 0x0
	v_cmp_neq_f64_e64 s0, 0, v[3:4]
	s_delay_alu instid0(VALU_DEP_2) | instskip(NEXT) | instid1(VALU_DEP_1)
	v_mov_b32_e32 v5, v7
	v_mad_u64_u32 v[15:16], null, v10, s15, v[5:6]
	v_mul_u32_u24_e32 v5, 3, v27
	s_delay_alu instid0(VALU_DEP_1) | instskip(NEXT) | instid1(VALU_DEP_3)
	v_lshlrev_b32_e32 v5, 3, v5
	v_mov_b32_e32 v7, v15
	s_waitcnt lgkmcnt(0)
	s_cmp_eq_u32 s1, 0
	s_cselect_b32 s2, -1, 0
	v_mad_u32_u24 v30, 0x180, v17, v5
	v_lshlrev_b64 v[15:16], 3, v[6:7]
	v_cndmask_b32_e64 v18, 0, 1, s2
	s_and_b32 s2, s2, exec_lo
	s_delay_alu instid0(VALU_DEP_1) | instskip(NEXT) | instid1(VALU_DEP_3)
	v_lshlrev_b64 v[5:6], v18, v[8:9]
	v_add_co_u32 v31, vcc_lo, s12, v15
	s_delay_alu instid0(VALU_DEP_4) | instskip(SKIP_1) | instid1(VALU_DEP_1)
	v_add_co_ci_u32_e32 v32, vcc_lo, s13, v16, vcc_lo
	v_add_co_u32 v33, s12, s12, v19
	v_add_co_ci_u32_e64 v34, null, s13, 0, s12
	s_waitcnt vmcnt(0)
	v_sub_co_u32 v7, vcc_lo, v11, s21
	v_subrev_co_ci_u32_e32 v8, vcc_lo, 0, v12, vcc_lo
	v_sub_co_u32 v9, vcc_lo, v13, s21
	v_cmp_lt_i64_e64 s1, v[11:12], v[13:14]
	v_subrev_co_ci_u32_e32 v10, vcc_lo, 0, v14, vcc_lo
	s_cselect_b32 s21, 1, 2
	s_lshl_b64 s[12:13], s[4:5], 3
	s_branch .LBB42_9
.LBB42_8:                               ;   in Loop: Header=BB42_9 Depth=1
	s_or_b32 exec_lo, exec_lo, s2
	s_add_u32 s16, s16, 16
	s_addc_u32 s17, s17, 0
	s_delay_alu instid0(SALU_CYCLE_1) | instskip(NEXT) | instid1(VALU_DEP_1)
	v_cmp_lt_i64_e64 s2, s[16:17], s[18:19]
	s_and_b32 vcc_lo, exec_lo, s2
	s_cbranch_vccz .LBB42_29
.LBB42_9:                               ; =>This Loop Header: Depth=1
                                        ;     Child Loop BB42_12 Depth 2
                                        ;       Child Loop BB42_16 Depth 3
	v_mov_b32_e32 v13, 0
	v_or_b32_e64 v12, s17, 0
	v_mov_b32_e32 v14, 0
	v_or_b32_e32 v11, s16, v27
	s_and_saveexec_b32 s22, s1
	s_cbranch_execz .LBB42_18
; %bb.10:                               ;   in Loop: Header=BB42_9 Depth=1
	s_delay_alu instid0(VALU_DEP_1) | instskip(SKIP_3) | instid1(VALU_DEP_4)
	v_lshlrev_b64 v[13:14], 3, v[11:12]
	v_dual_mov_b32 v15, 0 :: v_dual_mov_b32 v18, v8
	v_dual_mov_b32 v16, 0 :: v_dual_mov_b32 v17, v7
	v_cmp_gt_i64_e32 vcc_lo, s[18:19], v[11:12]
	v_add_co_u32 v35, s2, s10, v13
	s_delay_alu instid0(VALU_DEP_1) | instskip(NEXT) | instid1(VALU_DEP_4)
	v_add_co_ci_u32_e64 v36, s2, s11, v14, s2
	v_dual_mov_b32 v13, v15 :: v_dual_mov_b32 v14, v16
	s_mov_b32 s23, 0
	s_branch .LBB42_12
.LBB42_11:                              ;   in Loop: Header=BB42_12 Depth=2
	s_or_b32 exec_lo, exec_lo, s24
	v_add_co_u32 v17, s2, v17, 16
	s_delay_alu instid0(VALU_DEP_1) | instskip(NEXT) | instid1(VALU_DEP_1)
	v_add_co_ci_u32_e64 v18, s2, 0, v18, s2
	v_cmp_ge_i64_e64 s2, v[17:18], v[9:10]
	s_delay_alu instid0(VALU_DEP_1) | instskip(NEXT) | instid1(SALU_CYCLE_1)
	s_or_b32 s23, s2, s23
	s_and_not1_b32 exec_lo, exec_lo, s23
	s_cbranch_execz .LBB42_17
.LBB42_12:                              ;   Parent Loop BB42_9 Depth=1
                                        ; =>  This Loop Header: Depth=2
                                        ;       Child Loop BB42_16 Depth 3
	v_add_co_u32 v21, s2, v17, v27
	s_delay_alu instid0(VALU_DEP_1)
	v_add_co_ci_u32_e64 v22, s2, 0, v18, s2
	v_dual_mov_b32 v26, v16 :: v_dual_mov_b32 v25, v15
	v_dual_mov_b32 v20, v16 :: v_dual_mov_b32 v19, v15
	;; [unrolled: 1-line block ×3, first 2 shown]
	s_mov_b32 s24, exec_lo
	v_cmpx_lt_i64_e64 v[21:22], v[9:10]
	s_cbranch_execz .LBB42_14
; %bb.13:                               ;   in Loop: Header=BB42_12 Depth=2
	v_lshlrev_b64 v[19:20], 2, v[21:22]
	v_lshlrev_b64 v[21:22], 3, v[21:22]
	s_delay_alu instid0(VALU_DEP_2) | instskip(NEXT) | instid1(VALU_DEP_3)
	v_or_b32_e32 v20, v20, v6
	v_or_b32_e32 v19, v19, v5
	s_delay_alu instid0(VALU_DEP_3) | instskip(NEXT) | instid1(VALU_DEP_1)
	v_add_co_u32 v21, s2, s6, v21
	v_add_co_ci_u32_e64 v22, s2, s7, v22, s2
	s_delay_alu instid0(VALU_DEP_4) | instskip(NEXT) | instid1(VALU_DEP_4)
	v_or_b32_e32 v24, 0, v20
	v_or_b32_e32 v23, s21, v19
	v_lshlrev_b64 v[19:20], 3, v[19:20]
	global_load_b64 v[21:22], v[21:22], off
	v_lshlrev_b64 v[23:24], 3, v[23:24]
	v_add_co_u32 v19, s2, s8, v19
	s_delay_alu instid0(VALU_DEP_1) | instskip(NEXT) | instid1(VALU_DEP_3)
	v_add_co_ci_u32_e64 v20, s2, s9, v20, s2
	v_add_co_u32 v23, s2, s8, v23
	s_delay_alu instid0(VALU_DEP_1)
	v_add_co_ci_u32_e64 v24, s2, s9, v24, s2
	s_clause 0x1
	global_load_b64 v[19:20], v[19:20], off
	global_load_b64 v[23:24], v[23:24], off
	s_waitcnt vmcnt(2)
	v_sub_co_u32 v21, s2, v21, s3
	s_delay_alu instid0(VALU_DEP_1) | instskip(NEXT) | instid1(VALU_DEP_1)
	v_subrev_co_ci_u32_e64 v22, s2, 0, v22, s2
	v_lshlrev_b64 v[25:26], 1, v[21:22]
.LBB42_14:                              ;   in Loop: Header=BB42_12 Depth=2
	s_or_b32 exec_lo, exec_lo, s24
	ds_store_b64 v29, v[25:26]
	s_waitcnt vmcnt(0)
	ds_store_2addr_b64 v30, v[19:20], v[23:24] offset1:1
	s_waitcnt lgkmcnt(0)
	s_waitcnt_vscnt null, 0x0
	s_barrier
	buffer_gl0_inv
	s_and_saveexec_b32 s24, vcc_lo
	s_cbranch_execz .LBB42_11
; %bb.15:                               ;   in Loop: Header=BB42_12 Depth=2
	v_mov_b32_e32 v19, v28
	s_mov_b32 s25, 0
.LBB42_16:                              ;   Parent Loop BB42_9 Depth=1
                                        ;     Parent Loop BB42_12 Depth=2
                                        ; =>    This Inner Loop Header: Depth=3
	s_delay_alu instid0(SALU_CYCLE_1) | instskip(SKIP_1) | instid1(SALU_CYCLE_1)
	v_add_nc_u32_e32 v20, s25, v0
	s_add_i32 s25, s25, 16
	s_cmpk_lg_i32 s25, 0x80
	ds_load_b128 v[20:23], v20
	s_waitcnt lgkmcnt(0)
	v_mul_lo_u32 v21, v21, s4
	v_mul_lo_u32 v26, v20, s5
	v_mad_u64_u32 v[24:25], null, v20, s4, 0
	v_mul_lo_u32 v23, v23, s4
	s_delay_alu instid0(VALU_DEP_2) | instskip(SKIP_1) | instid1(VALU_DEP_2)
	v_add3_u32 v25, v25, v26, v21
	v_mul_lo_u32 v26, v22, s5
	v_lshlrev_b64 v[20:21], 3, v[24:25]
	s_delay_alu instid0(VALU_DEP_1) | instskip(NEXT) | instid1(VALU_DEP_1)
	v_add_co_u32 v20, s2, v35, v20
	v_add_co_ci_u32_e64 v21, s2, v36, v21, s2
	global_load_b64 v[24:25], v[20:21], off
	v_add_co_u32 v20, s2, v20, s12
	s_delay_alu instid0(VALU_DEP_1) | instskip(SKIP_2) | instid1(VALU_DEP_1)
	v_add_co_ci_u32_e64 v21, s2, s13, v21, s2
	global_load_b64 v[41:42], v[20:21], off
	v_mad_u64_u32 v[20:21], null, v22, s4, 0
	v_add3_u32 v21, v21, v26, v23
	s_delay_alu instid0(VALU_DEP_1) | instskip(NEXT) | instid1(VALU_DEP_1)
	v_lshlrev_b64 v[20:21], 3, v[20:21]
	v_add_co_u32 v20, s2, v35, v20
	s_delay_alu instid0(VALU_DEP_1) | instskip(SKIP_2) | instid1(VALU_DEP_1)
	v_add_co_ci_u32_e64 v21, s2, v36, v21, s2
	global_load_b64 v[43:44], v[20:21], off
	v_add_co_u32 v20, s2, v20, s12
	v_add_co_ci_u32_e64 v21, s2, s13, v21, s2
	global_load_b64 v[45:46], v[20:21], off
	ds_load_b128 v[20:23], v19
	ds_load_2addr_b64 v[37:40], v19 offset0:3 offset1:4
	v_add_nc_u32_e32 v19, 48, v19
	s_waitcnt vmcnt(3) lgkmcnt(1)
	v_fma_f64 v[13:14], v[20:21], v[24:25], v[13:14]
	s_waitcnt vmcnt(2)
	s_delay_alu instid0(VALU_DEP_1) | instskip(SKIP_1) | instid1(VALU_DEP_1)
	v_fma_f64 v[13:14], v[22:23], v[41:42], v[13:14]
	s_waitcnt vmcnt(1) lgkmcnt(0)
	v_fma_f64 v[13:14], v[37:38], v[43:44], v[13:14]
	s_waitcnt vmcnt(0)
	s_delay_alu instid0(VALU_DEP_1)
	v_fma_f64 v[13:14], v[39:40], v[45:46], v[13:14]
	s_cbranch_scc1 .LBB42_16
	s_branch .LBB42_11
.LBB42_17:                              ;   in Loop: Header=BB42_9 Depth=1
	s_or_b32 exec_lo, exec_lo, s23
.LBB42_18:                              ;   in Loop: Header=BB42_9 Depth=1
	s_delay_alu instid0(SALU_CYCLE_1) | instskip(NEXT) | instid1(SALU_CYCLE_1)
	s_or_b32 exec_lo, exec_lo, s22
	s_mov_b32 s2, exec_lo
	v_cmpx_gt_i64_e64 s[18:19], v[11:12]
	s_cbranch_execz .LBB42_8
; %bb.19:                               ;   in Loop: Header=BB42_9 Depth=1
	s_and_saveexec_b32 s22, s0
	s_delay_alu instid0(SALU_CYCLE_1)
	s_xor_b32 s22, exec_lo, s22
	s_cbranch_execz .LBB42_24
; %bb.20:                               ;   in Loop: Header=BB42_9 Depth=1
	s_and_b32 vcc_lo, exec_lo, s20
	s_mov_b32 s23, -1
	s_cbranch_vccz .LBB42_22
; %bb.21:                               ;   in Loop: Header=BB42_9 Depth=1
	v_lshlrev_b64 v[15:16], 3, v[11:12]
	s_delay_alu instid0(VALU_DEP_4) | instskip(SKIP_1) | instid1(VALU_DEP_2)
	v_mul_f64 v[19:20], v[1:2], v[13:14]
	s_mov_b32 s23, 0
	v_add_co_u32 v15, vcc_lo, v31, v15
	s_delay_alu instid0(VALU_DEP_3)
	v_add_co_ci_u32_e32 v16, vcc_lo, v32, v16, vcc_lo
	global_load_b64 v[17:18], v[15:16], off
	s_waitcnt vmcnt(0)
	v_fma_f64 v[17:18], v[3:4], v[17:18], v[19:20]
	global_store_b64 v[15:16], v[17:18], off
.LBB42_22:                              ;   in Loop: Header=BB42_9 Depth=1
	s_and_not1_b32 vcc_lo, exec_lo, s23
	s_cbranch_vccnz .LBB42_24
; %bb.23:                               ;   in Loop: Header=BB42_9 Depth=1
	v_mul_lo_u32 v12, v12, s14
	v_mul_lo_u32 v17, v11, s15
	v_mad_u64_u32 v[15:16], null, v11, s14, 0
	v_mul_f64 v[13:14], v[1:2], v[13:14]
	s_delay_alu instid0(VALU_DEP_2) | instskip(NEXT) | instid1(VALU_DEP_1)
	v_add3_u32 v16, v16, v17, v12
	v_lshlrev_b64 v[11:12], 3, v[15:16]
	s_delay_alu instid0(VALU_DEP_1) | instskip(NEXT) | instid1(VALU_DEP_2)
	v_add_co_u32 v11, vcc_lo, v33, v11
	v_add_co_ci_u32_e32 v12, vcc_lo, v34, v12, vcc_lo
	global_load_b64 v[15:16], v[11:12], off
	s_waitcnt vmcnt(0)
	v_fma_f64 v[13:14], v[3:4], v[15:16], v[13:14]
	global_store_b64 v[11:12], v[13:14], off
                                        ; implicit-def: $vgpr11_vgpr12
                                        ; implicit-def: $vgpr13_vgpr14
.LBB42_24:                              ;   in Loop: Header=BB42_9 Depth=1
	s_and_not1_saveexec_b32 s22, s22
	s_cbranch_execz .LBB42_8
; %bb.25:                               ;   in Loop: Header=BB42_9 Depth=1
	s_delay_alu instid0(VALU_DEP_3)
	v_mul_f64 v[13:14], v[1:2], v[13:14]
	s_and_b32 vcc_lo, exec_lo, s20
	s_mov_b32 s22, -1
	s_cbranch_vccz .LBB42_27
; %bb.26:                               ;   in Loop: Header=BB42_9 Depth=1
	v_lshlrev_b64 v[15:16], 3, v[11:12]
	s_mov_b32 s22, 0
	s_delay_alu instid0(VALU_DEP_1) | instskip(NEXT) | instid1(VALU_DEP_2)
	v_add_co_u32 v15, vcc_lo, v31, v15
	v_add_co_ci_u32_e32 v16, vcc_lo, v32, v16, vcc_lo
	global_store_b64 v[15:16], v[13:14], off
.LBB42_27:                              ;   in Loop: Header=BB42_9 Depth=1
	s_and_not1_b32 vcc_lo, exec_lo, s22
	s_cbranch_vccnz .LBB42_8
; %bb.28:                               ;   in Loop: Header=BB42_9 Depth=1
	v_mul_lo_u32 v12, v12, s14
	v_mul_lo_u32 v17, v11, s15
	v_mad_u64_u32 v[15:16], null, v11, s14, 0
	s_delay_alu instid0(VALU_DEP_1) | instskip(NEXT) | instid1(VALU_DEP_1)
	v_add3_u32 v16, v16, v17, v12
	v_lshlrev_b64 v[11:12], 3, v[15:16]
	s_delay_alu instid0(VALU_DEP_1) | instskip(NEXT) | instid1(VALU_DEP_2)
	v_add_co_u32 v11, vcc_lo, v33, v11
	v_add_co_ci_u32_e32 v12, vcc_lo, v34, v12, vcc_lo
	global_store_b64 v[11:12], v[13:14], off
	s_branch .LBB42_8
.LBB42_29:
	s_nop 0
	s_sendmsg sendmsg(MSG_DEALLOC_VGPRS)
	s_endpgm
	.section	.rodata,"a",@progbits
	.p2align	6, 0x0
	.amdhsa_kernel _ZN9rocsparseL29bsrmmnt_small_blockdim_kernelILj64ELj16ELj2EllddddEEv20rocsparse_direction_T3_S2_llNS_24const_host_device_scalarIT7_EEPKT2_PKS2_PKT4_PKT5_llS5_PT6_ll16rocsparse_order_21rocsparse_index_base_b
		.amdhsa_group_segment_fixed_size 2048
		.amdhsa_private_segment_fixed_size 0
		.amdhsa_kernarg_size 400
		.amdhsa_user_sgpr_count 15
		.amdhsa_user_sgpr_dispatch_ptr 0
		.amdhsa_user_sgpr_queue_ptr 0
		.amdhsa_user_sgpr_kernarg_segment_ptr 1
		.amdhsa_user_sgpr_dispatch_id 0
		.amdhsa_user_sgpr_private_segment_size 0
		.amdhsa_wavefront_size32 1
		.amdhsa_uses_dynamic_stack 0
		.amdhsa_enable_private_segment 0
		.amdhsa_system_sgpr_workgroup_id_x 1
		.amdhsa_system_sgpr_workgroup_id_y 0
		.amdhsa_system_sgpr_workgroup_id_z 0
		.amdhsa_system_sgpr_workgroup_info 0
		.amdhsa_system_vgpr_workitem_id 0
		.amdhsa_next_free_vgpr 47
		.amdhsa_next_free_sgpr 26
		.amdhsa_reserve_vcc 1
		.amdhsa_float_round_mode_32 0
		.amdhsa_float_round_mode_16_64 0
		.amdhsa_float_denorm_mode_32 3
		.amdhsa_float_denorm_mode_16_64 3
		.amdhsa_dx10_clamp 1
		.amdhsa_ieee_mode 1
		.amdhsa_fp16_overflow 0
		.amdhsa_workgroup_processor_mode 1
		.amdhsa_memory_ordered 1
		.amdhsa_forward_progress 0
		.amdhsa_shared_vgpr_count 0
		.amdhsa_exception_fp_ieee_invalid_op 0
		.amdhsa_exception_fp_denorm_src 0
		.amdhsa_exception_fp_ieee_div_zero 0
		.amdhsa_exception_fp_ieee_overflow 0
		.amdhsa_exception_fp_ieee_underflow 0
		.amdhsa_exception_fp_ieee_inexact 0
		.amdhsa_exception_int_div_zero 0
	.end_amdhsa_kernel
	.section	.text._ZN9rocsparseL29bsrmmnt_small_blockdim_kernelILj64ELj16ELj2EllddddEEv20rocsparse_direction_T3_S2_llNS_24const_host_device_scalarIT7_EEPKT2_PKS2_PKT4_PKT5_llS5_PT6_ll16rocsparse_order_21rocsparse_index_base_b,"axG",@progbits,_ZN9rocsparseL29bsrmmnt_small_blockdim_kernelILj64ELj16ELj2EllddddEEv20rocsparse_direction_T3_S2_llNS_24const_host_device_scalarIT7_EEPKT2_PKS2_PKT4_PKT5_llS5_PT6_ll16rocsparse_order_21rocsparse_index_base_b,comdat
.Lfunc_end42:
	.size	_ZN9rocsparseL29bsrmmnt_small_blockdim_kernelILj64ELj16ELj2EllddddEEv20rocsparse_direction_T3_S2_llNS_24const_host_device_scalarIT7_EEPKT2_PKS2_PKT4_PKT5_llS5_PT6_ll16rocsparse_order_21rocsparse_index_base_b, .Lfunc_end42-_ZN9rocsparseL29bsrmmnt_small_blockdim_kernelILj64ELj16ELj2EllddddEEv20rocsparse_direction_T3_S2_llNS_24const_host_device_scalarIT7_EEPKT2_PKS2_PKT4_PKT5_llS5_PT6_ll16rocsparse_order_21rocsparse_index_base_b
                                        ; -- End function
	.section	.AMDGPU.csdata,"",@progbits
; Kernel info:
; codeLenInByte = 1708
; NumSgprs: 28
; NumVgprs: 47
; ScratchSize: 0
; MemoryBound: 0
; FloatMode: 240
; IeeeMode: 1
; LDSByteSize: 2048 bytes/workgroup (compile time only)
; SGPRBlocks: 3
; VGPRBlocks: 5
; NumSGPRsForWavesPerEU: 28
; NumVGPRsForWavesPerEU: 47
; Occupancy: 16
; WaveLimiterHint : 1
; COMPUTE_PGM_RSRC2:SCRATCH_EN: 0
; COMPUTE_PGM_RSRC2:USER_SGPR: 15
; COMPUTE_PGM_RSRC2:TRAP_HANDLER: 0
; COMPUTE_PGM_RSRC2:TGID_X_EN: 1
; COMPUTE_PGM_RSRC2:TGID_Y_EN: 0
; COMPUTE_PGM_RSRC2:TGID_Z_EN: 0
; COMPUTE_PGM_RSRC2:TIDIG_COMP_CNT: 0
	.section	.text._ZN9rocsparseL29bsrmmnt_small_blockdim_kernelILj64ELj32ELj2EllddddEEv20rocsparse_direction_T3_S2_llNS_24const_host_device_scalarIT7_EEPKT2_PKS2_PKT4_PKT5_llS5_PT6_ll16rocsparse_order_21rocsparse_index_base_b,"axG",@progbits,_ZN9rocsparseL29bsrmmnt_small_blockdim_kernelILj64ELj32ELj2EllddddEEv20rocsparse_direction_T3_S2_llNS_24const_host_device_scalarIT7_EEPKT2_PKS2_PKT4_PKT5_llS5_PT6_ll16rocsparse_order_21rocsparse_index_base_b,comdat
	.globl	_ZN9rocsparseL29bsrmmnt_small_blockdim_kernelILj64ELj32ELj2EllddddEEv20rocsparse_direction_T3_S2_llNS_24const_host_device_scalarIT7_EEPKT2_PKS2_PKT4_PKT5_llS5_PT6_ll16rocsparse_order_21rocsparse_index_base_b ; -- Begin function _ZN9rocsparseL29bsrmmnt_small_blockdim_kernelILj64ELj32ELj2EllddddEEv20rocsparse_direction_T3_S2_llNS_24const_host_device_scalarIT7_EEPKT2_PKS2_PKT4_PKT5_llS5_PT6_ll16rocsparse_order_21rocsparse_index_base_b
	.p2align	8
	.type	_ZN9rocsparseL29bsrmmnt_small_blockdim_kernelILj64ELj32ELj2EllddddEEv20rocsparse_direction_T3_S2_llNS_24const_host_device_scalarIT7_EEPKT2_PKS2_PKT4_PKT5_llS5_PT6_ll16rocsparse_order_21rocsparse_index_base_b,@function
_ZN9rocsparseL29bsrmmnt_small_blockdim_kernelILj64ELj32ELj2EllddddEEv20rocsparse_direction_T3_S2_llNS_24const_host_device_scalarIT7_EEPKT2_PKS2_PKT4_PKT5_llS5_PT6_ll16rocsparse_order_21rocsparse_index_base_b: ; @_ZN9rocsparseL29bsrmmnt_small_blockdim_kernelILj64ELj32ELj2EllddddEEv20rocsparse_direction_T3_S2_llNS_24const_host_device_scalarIT7_EEPKT2_PKS2_PKT4_PKT5_llS5_PT6_ll16rocsparse_order_21rocsparse_index_base_b
; %bb.0:
	s_clause 0x2
	s_load_b128 s[20:23], s[0:1], 0x80
	s_load_b64 s[4:5], s[0:1], 0x28
	s_load_b64 s[2:3], s[0:1], 0x60
	s_waitcnt lgkmcnt(0)
	s_bitcmp1_b32 s22, 0
	v_dual_mov_b32 v1, s4 :: v_dual_mov_b32 v2, s5
	s_cselect_b32 s6, -1, 0
	s_delay_alu instid0(SALU_CYCLE_1)
	s_and_b32 vcc_lo, exec_lo, s6
	s_xor_b32 s6, s6, -1
	s_cbranch_vccnz .LBB43_2
; %bb.1:
	v_dual_mov_b32 v1, s4 :: v_dual_mov_b32 v2, s5
	flat_load_b64 v[1:2], v[1:2]
.LBB43_2:
	v_dual_mov_b32 v4, s3 :: v_dual_mov_b32 v3, s2
	s_and_not1_b32 vcc_lo, exec_lo, s6
	s_cbranch_vccnz .LBB43_4
; %bb.3:
	v_dual_mov_b32 v4, s3 :: v_dual_mov_b32 v3, s2
	flat_load_b64 v[3:4], v[3:4]
.LBB43_4:
	s_waitcnt vmcnt(0) lgkmcnt(0)
	v_cmp_neq_f64_e32 vcc_lo, 0, v[1:2]
	v_cmp_neq_f64_e64 s2, 1.0, v[3:4]
	s_delay_alu instid0(VALU_DEP_1) | instskip(NEXT) | instid1(SALU_CYCLE_1)
	s_or_b32 s2, vcc_lo, s2
	s_and_saveexec_b32 s3, s2
	s_cbranch_execz .LBB43_29
; %bb.5:
	s_clause 0x1
	s_load_b32 s2, s[0:1], 0x9c
	s_load_b128 s[16:19], s[0:1], 0x8
	v_mov_b32_e32 v7, 0
	s_waitcnt lgkmcnt(0)
	s_and_b32 s2, s2, 0xffff
	s_delay_alu instid0(SALU_CYCLE_1) | instskip(NEXT) | instid1(VALU_DEP_1)
	v_mad_u64_u32 v[5:6], null, s15, s2, v[0:1]
	v_lshrrev_b32_e32 v6, 6, v5
	s_delay_alu instid0(VALU_DEP_1)
	v_cmp_gt_i64_e32 vcc_lo, s[16:17], v[6:7]
	s_and_b32 exec_lo, exec_lo, vcc_lo
	s_cbranch_execz .LBB43_29
; %bb.6:
	v_cmp_lt_i64_e64 s2, s[18:19], 1
	s_delay_alu instid0(VALU_DEP_1)
	s_and_b32 vcc_lo, exec_lo, s2
	s_cbranch_vccnz .LBB43_29
; %bb.7:
	s_load_b256 s[4:11], s[0:1], 0x30
	v_lshlrev_b32_e32 v6, 3, v6
	s_load_b128 s[12:15], s[0:1], 0x68
	v_lshrrev_b32_e32 v10, 5, v5
	v_bfe_u32 v8, v5, 5, 1
	v_and_b32_e32 v27, 31, v0
	s_cmp_lg_u32 s20, 1
	v_lshrrev_b32_e32 v17, 5, v0
	s_cselect_b32 s20, -1, 0
	v_mov_b32_e32 v9, 0
	v_lshlrev_b32_e32 v19, 3, v10
	s_mov_b32 s3, s21
	v_lshl_or_b32 v0, v17, 8, 0x600
	v_mul_u32_u24_e32 v28, 0x300, v17
	s_mov_b64 s[16:17], 0
	s_delay_alu instid0(VALU_DEP_2)
	v_lshl_or_b32 v29, v27, 3, v0
	s_waitcnt lgkmcnt(0)
	global_load_b128 v[11:14], v6, s[4:5]
	s_load_b64 s[4:5], s[0:1], 0x50
	v_mad_u64_u32 v[6:7], null, v10, s14, 0
	s_load_b32 s1, s[0:1], 0x0
	v_cmp_neq_f64_e64 s0, 0, v[3:4]
	s_delay_alu instid0(VALU_DEP_2) | instskip(NEXT) | instid1(VALU_DEP_1)
	v_mov_b32_e32 v5, v7
	v_mad_u64_u32 v[15:16], null, v10, s15, v[5:6]
	v_mul_u32_u24_e32 v5, 3, v27
	s_delay_alu instid0(VALU_DEP_1) | instskip(NEXT) | instid1(VALU_DEP_3)
	v_lshlrev_b32_e32 v5, 3, v5
	v_mov_b32_e32 v7, v15
	s_waitcnt lgkmcnt(0)
	s_cmp_eq_u32 s1, 0
	s_cselect_b32 s2, -1, 0
	v_mad_u32_u24 v30, 0x300, v17, v5
	v_lshlrev_b64 v[15:16], 3, v[6:7]
	v_cndmask_b32_e64 v18, 0, 1, s2
	s_and_b32 s2, s2, exec_lo
	s_delay_alu instid0(VALU_DEP_1) | instskip(NEXT) | instid1(VALU_DEP_3)
	v_lshlrev_b64 v[5:6], v18, v[8:9]
	v_add_co_u32 v31, vcc_lo, s12, v15
	s_delay_alu instid0(VALU_DEP_4) | instskip(SKIP_1) | instid1(VALU_DEP_1)
	v_add_co_ci_u32_e32 v32, vcc_lo, s13, v16, vcc_lo
	v_add_co_u32 v33, s12, s12, v19
	v_add_co_ci_u32_e64 v34, null, s13, 0, s12
	s_waitcnt vmcnt(0)
	v_sub_co_u32 v7, vcc_lo, v11, s21
	v_subrev_co_ci_u32_e32 v8, vcc_lo, 0, v12, vcc_lo
	v_sub_co_u32 v9, vcc_lo, v13, s21
	v_cmp_lt_i64_e64 s1, v[11:12], v[13:14]
	v_subrev_co_ci_u32_e32 v10, vcc_lo, 0, v14, vcc_lo
	s_cselect_b32 s21, 1, 2
	s_lshl_b64 s[12:13], s[4:5], 3
	s_branch .LBB43_9
.LBB43_8:                               ;   in Loop: Header=BB43_9 Depth=1
	s_or_b32 exec_lo, exec_lo, s2
	s_add_u32 s16, s16, 32
	s_addc_u32 s17, s17, 0
	s_delay_alu instid0(SALU_CYCLE_1) | instskip(NEXT) | instid1(VALU_DEP_1)
	v_cmp_lt_i64_e64 s2, s[16:17], s[18:19]
	s_and_b32 vcc_lo, exec_lo, s2
	s_cbranch_vccz .LBB43_29
.LBB43_9:                               ; =>This Loop Header: Depth=1
                                        ;     Child Loop BB43_12 Depth 2
                                        ;       Child Loop BB43_16 Depth 3
	v_mov_b32_e32 v13, 0
	v_or_b32_e64 v12, s17, 0
	v_mov_b32_e32 v14, 0
	v_or_b32_e32 v11, s16, v27
	s_and_saveexec_b32 s22, s1
	s_cbranch_execz .LBB43_18
; %bb.10:                               ;   in Loop: Header=BB43_9 Depth=1
	s_delay_alu instid0(VALU_DEP_1) | instskip(SKIP_3) | instid1(VALU_DEP_4)
	v_lshlrev_b64 v[13:14], 3, v[11:12]
	v_dual_mov_b32 v15, 0 :: v_dual_mov_b32 v18, v8
	v_dual_mov_b32 v16, 0 :: v_dual_mov_b32 v17, v7
	v_cmp_gt_i64_e32 vcc_lo, s[18:19], v[11:12]
	v_add_co_u32 v35, s2, s10, v13
	s_delay_alu instid0(VALU_DEP_1) | instskip(NEXT) | instid1(VALU_DEP_4)
	v_add_co_ci_u32_e64 v36, s2, s11, v14, s2
	v_dual_mov_b32 v13, v15 :: v_dual_mov_b32 v14, v16
	s_mov_b32 s23, 0
	s_branch .LBB43_12
.LBB43_11:                              ;   in Loop: Header=BB43_12 Depth=2
	s_or_b32 exec_lo, exec_lo, s24
	v_add_co_u32 v17, s2, v17, 32
	s_delay_alu instid0(VALU_DEP_1) | instskip(NEXT) | instid1(VALU_DEP_1)
	v_add_co_ci_u32_e64 v18, s2, 0, v18, s2
	v_cmp_ge_i64_e64 s2, v[17:18], v[9:10]
	s_delay_alu instid0(VALU_DEP_1) | instskip(NEXT) | instid1(SALU_CYCLE_1)
	s_or_b32 s23, s2, s23
	s_and_not1_b32 exec_lo, exec_lo, s23
	s_cbranch_execz .LBB43_17
.LBB43_12:                              ;   Parent Loop BB43_9 Depth=1
                                        ; =>  This Loop Header: Depth=2
                                        ;       Child Loop BB43_16 Depth 3
	v_add_co_u32 v21, s2, v17, v27
	s_delay_alu instid0(VALU_DEP_1)
	v_add_co_ci_u32_e64 v22, s2, 0, v18, s2
	v_dual_mov_b32 v26, v16 :: v_dual_mov_b32 v25, v15
	v_dual_mov_b32 v20, v16 :: v_dual_mov_b32 v19, v15
	;; [unrolled: 1-line block ×3, first 2 shown]
	s_mov_b32 s24, exec_lo
	v_cmpx_lt_i64_e64 v[21:22], v[9:10]
	s_cbranch_execz .LBB43_14
; %bb.13:                               ;   in Loop: Header=BB43_12 Depth=2
	v_lshlrev_b64 v[19:20], 2, v[21:22]
	v_lshlrev_b64 v[21:22], 3, v[21:22]
	s_delay_alu instid0(VALU_DEP_2) | instskip(NEXT) | instid1(VALU_DEP_3)
	v_or_b32_e32 v20, v20, v6
	v_or_b32_e32 v19, v19, v5
	s_delay_alu instid0(VALU_DEP_3) | instskip(NEXT) | instid1(VALU_DEP_1)
	v_add_co_u32 v21, s2, s6, v21
	v_add_co_ci_u32_e64 v22, s2, s7, v22, s2
	s_delay_alu instid0(VALU_DEP_4) | instskip(NEXT) | instid1(VALU_DEP_4)
	v_or_b32_e32 v24, 0, v20
	v_or_b32_e32 v23, s21, v19
	v_lshlrev_b64 v[19:20], 3, v[19:20]
	global_load_b64 v[21:22], v[21:22], off
	v_lshlrev_b64 v[23:24], 3, v[23:24]
	v_add_co_u32 v19, s2, s8, v19
	s_delay_alu instid0(VALU_DEP_1) | instskip(NEXT) | instid1(VALU_DEP_3)
	v_add_co_ci_u32_e64 v20, s2, s9, v20, s2
	v_add_co_u32 v23, s2, s8, v23
	s_delay_alu instid0(VALU_DEP_1)
	v_add_co_ci_u32_e64 v24, s2, s9, v24, s2
	s_clause 0x1
	global_load_b64 v[19:20], v[19:20], off
	global_load_b64 v[23:24], v[23:24], off
	s_waitcnt vmcnt(2)
	v_sub_co_u32 v21, s2, v21, s3
	s_delay_alu instid0(VALU_DEP_1) | instskip(NEXT) | instid1(VALU_DEP_1)
	v_subrev_co_ci_u32_e64 v22, s2, 0, v22, s2
	v_lshlrev_b64 v[25:26], 1, v[21:22]
.LBB43_14:                              ;   in Loop: Header=BB43_12 Depth=2
	s_or_b32 exec_lo, exec_lo, s24
	ds_store_b64 v29, v[25:26]
	s_waitcnt vmcnt(0)
	ds_store_2addr_b64 v30, v[19:20], v[23:24] offset1:1
	s_waitcnt lgkmcnt(0)
	s_waitcnt_vscnt null, 0x0
	s_barrier
	buffer_gl0_inv
	s_and_saveexec_b32 s24, vcc_lo
	s_cbranch_execz .LBB43_11
; %bb.15:                               ;   in Loop: Header=BB43_12 Depth=2
	v_mov_b32_e32 v19, v28
	s_mov_b32 s25, 0
.LBB43_16:                              ;   Parent Loop BB43_9 Depth=1
                                        ;     Parent Loop BB43_12 Depth=2
                                        ; =>    This Inner Loop Header: Depth=3
	s_delay_alu instid0(SALU_CYCLE_1) | instskip(SKIP_1) | instid1(SALU_CYCLE_1)
	v_add_nc_u32_e32 v20, s25, v0
	s_add_i32 s25, s25, 16
	s_cmpk_lg_i32 s25, 0x100
	ds_load_b128 v[20:23], v20
	s_waitcnt lgkmcnt(0)
	v_mul_lo_u32 v21, v21, s4
	v_mul_lo_u32 v26, v20, s5
	v_mad_u64_u32 v[24:25], null, v20, s4, 0
	v_mul_lo_u32 v23, v23, s4
	s_delay_alu instid0(VALU_DEP_2) | instskip(SKIP_1) | instid1(VALU_DEP_2)
	v_add3_u32 v25, v25, v26, v21
	v_mul_lo_u32 v26, v22, s5
	v_lshlrev_b64 v[20:21], 3, v[24:25]
	s_delay_alu instid0(VALU_DEP_1) | instskip(NEXT) | instid1(VALU_DEP_1)
	v_add_co_u32 v20, s2, v35, v20
	v_add_co_ci_u32_e64 v21, s2, v36, v21, s2
	global_load_b64 v[24:25], v[20:21], off
	v_add_co_u32 v20, s2, v20, s12
	s_delay_alu instid0(VALU_DEP_1) | instskip(SKIP_2) | instid1(VALU_DEP_1)
	v_add_co_ci_u32_e64 v21, s2, s13, v21, s2
	global_load_b64 v[41:42], v[20:21], off
	v_mad_u64_u32 v[20:21], null, v22, s4, 0
	v_add3_u32 v21, v21, v26, v23
	s_delay_alu instid0(VALU_DEP_1) | instskip(NEXT) | instid1(VALU_DEP_1)
	v_lshlrev_b64 v[20:21], 3, v[20:21]
	v_add_co_u32 v20, s2, v35, v20
	s_delay_alu instid0(VALU_DEP_1) | instskip(SKIP_2) | instid1(VALU_DEP_1)
	v_add_co_ci_u32_e64 v21, s2, v36, v21, s2
	global_load_b64 v[43:44], v[20:21], off
	v_add_co_u32 v20, s2, v20, s12
	v_add_co_ci_u32_e64 v21, s2, s13, v21, s2
	global_load_b64 v[45:46], v[20:21], off
	ds_load_b128 v[20:23], v19
	ds_load_2addr_b64 v[37:40], v19 offset0:3 offset1:4
	v_add_nc_u32_e32 v19, 48, v19
	s_waitcnt vmcnt(3) lgkmcnt(1)
	v_fma_f64 v[13:14], v[20:21], v[24:25], v[13:14]
	s_waitcnt vmcnt(2)
	s_delay_alu instid0(VALU_DEP_1) | instskip(SKIP_1) | instid1(VALU_DEP_1)
	v_fma_f64 v[13:14], v[22:23], v[41:42], v[13:14]
	s_waitcnt vmcnt(1) lgkmcnt(0)
	v_fma_f64 v[13:14], v[37:38], v[43:44], v[13:14]
	s_waitcnt vmcnt(0)
	s_delay_alu instid0(VALU_DEP_1)
	v_fma_f64 v[13:14], v[39:40], v[45:46], v[13:14]
	s_cbranch_scc1 .LBB43_16
	s_branch .LBB43_11
.LBB43_17:                              ;   in Loop: Header=BB43_9 Depth=1
	s_or_b32 exec_lo, exec_lo, s23
.LBB43_18:                              ;   in Loop: Header=BB43_9 Depth=1
	s_delay_alu instid0(SALU_CYCLE_1) | instskip(NEXT) | instid1(SALU_CYCLE_1)
	s_or_b32 exec_lo, exec_lo, s22
	s_mov_b32 s2, exec_lo
	v_cmpx_gt_i64_e64 s[18:19], v[11:12]
	s_cbranch_execz .LBB43_8
; %bb.19:                               ;   in Loop: Header=BB43_9 Depth=1
	s_and_saveexec_b32 s22, s0
	s_delay_alu instid0(SALU_CYCLE_1)
	s_xor_b32 s22, exec_lo, s22
	s_cbranch_execz .LBB43_24
; %bb.20:                               ;   in Loop: Header=BB43_9 Depth=1
	s_and_b32 vcc_lo, exec_lo, s20
	s_mov_b32 s23, -1
	s_cbranch_vccz .LBB43_22
; %bb.21:                               ;   in Loop: Header=BB43_9 Depth=1
	v_lshlrev_b64 v[15:16], 3, v[11:12]
	s_delay_alu instid0(VALU_DEP_4) | instskip(SKIP_1) | instid1(VALU_DEP_2)
	v_mul_f64 v[19:20], v[1:2], v[13:14]
	s_mov_b32 s23, 0
	v_add_co_u32 v15, vcc_lo, v31, v15
	s_delay_alu instid0(VALU_DEP_3)
	v_add_co_ci_u32_e32 v16, vcc_lo, v32, v16, vcc_lo
	global_load_b64 v[17:18], v[15:16], off
	s_waitcnt vmcnt(0)
	v_fma_f64 v[17:18], v[3:4], v[17:18], v[19:20]
	global_store_b64 v[15:16], v[17:18], off
.LBB43_22:                              ;   in Loop: Header=BB43_9 Depth=1
	s_and_not1_b32 vcc_lo, exec_lo, s23
	s_cbranch_vccnz .LBB43_24
; %bb.23:                               ;   in Loop: Header=BB43_9 Depth=1
	v_mul_lo_u32 v12, v12, s14
	v_mul_lo_u32 v17, v11, s15
	v_mad_u64_u32 v[15:16], null, v11, s14, 0
	v_mul_f64 v[13:14], v[1:2], v[13:14]
	s_delay_alu instid0(VALU_DEP_2) | instskip(NEXT) | instid1(VALU_DEP_1)
	v_add3_u32 v16, v16, v17, v12
	v_lshlrev_b64 v[11:12], 3, v[15:16]
	s_delay_alu instid0(VALU_DEP_1) | instskip(NEXT) | instid1(VALU_DEP_2)
	v_add_co_u32 v11, vcc_lo, v33, v11
	v_add_co_ci_u32_e32 v12, vcc_lo, v34, v12, vcc_lo
	global_load_b64 v[15:16], v[11:12], off
	s_waitcnt vmcnt(0)
	v_fma_f64 v[13:14], v[3:4], v[15:16], v[13:14]
	global_store_b64 v[11:12], v[13:14], off
                                        ; implicit-def: $vgpr11_vgpr12
                                        ; implicit-def: $vgpr13_vgpr14
.LBB43_24:                              ;   in Loop: Header=BB43_9 Depth=1
	s_and_not1_saveexec_b32 s22, s22
	s_cbranch_execz .LBB43_8
; %bb.25:                               ;   in Loop: Header=BB43_9 Depth=1
	s_delay_alu instid0(VALU_DEP_3)
	v_mul_f64 v[13:14], v[1:2], v[13:14]
	s_and_b32 vcc_lo, exec_lo, s20
	s_mov_b32 s22, -1
	s_cbranch_vccz .LBB43_27
; %bb.26:                               ;   in Loop: Header=BB43_9 Depth=1
	v_lshlrev_b64 v[15:16], 3, v[11:12]
	s_mov_b32 s22, 0
	s_delay_alu instid0(VALU_DEP_1) | instskip(NEXT) | instid1(VALU_DEP_2)
	v_add_co_u32 v15, vcc_lo, v31, v15
	v_add_co_ci_u32_e32 v16, vcc_lo, v32, v16, vcc_lo
	global_store_b64 v[15:16], v[13:14], off
.LBB43_27:                              ;   in Loop: Header=BB43_9 Depth=1
	s_and_not1_b32 vcc_lo, exec_lo, s22
	s_cbranch_vccnz .LBB43_8
; %bb.28:                               ;   in Loop: Header=BB43_9 Depth=1
	v_mul_lo_u32 v12, v12, s14
	v_mul_lo_u32 v17, v11, s15
	v_mad_u64_u32 v[15:16], null, v11, s14, 0
	s_delay_alu instid0(VALU_DEP_1) | instskip(NEXT) | instid1(VALU_DEP_1)
	v_add3_u32 v16, v16, v17, v12
	v_lshlrev_b64 v[11:12], 3, v[15:16]
	s_delay_alu instid0(VALU_DEP_1) | instskip(NEXT) | instid1(VALU_DEP_2)
	v_add_co_u32 v11, vcc_lo, v33, v11
	v_add_co_ci_u32_e32 v12, vcc_lo, v34, v12, vcc_lo
	global_store_b64 v[11:12], v[13:14], off
	s_branch .LBB43_8
.LBB43_29:
	s_nop 0
	s_sendmsg sendmsg(MSG_DEALLOC_VGPRS)
	s_endpgm
	.section	.rodata,"a",@progbits
	.p2align	6, 0x0
	.amdhsa_kernel _ZN9rocsparseL29bsrmmnt_small_blockdim_kernelILj64ELj32ELj2EllddddEEv20rocsparse_direction_T3_S2_llNS_24const_host_device_scalarIT7_EEPKT2_PKS2_PKT4_PKT5_llS5_PT6_ll16rocsparse_order_21rocsparse_index_base_b
		.amdhsa_group_segment_fixed_size 2048
		.amdhsa_private_segment_fixed_size 0
		.amdhsa_kernarg_size 400
		.amdhsa_user_sgpr_count 15
		.amdhsa_user_sgpr_dispatch_ptr 0
		.amdhsa_user_sgpr_queue_ptr 0
		.amdhsa_user_sgpr_kernarg_segment_ptr 1
		.amdhsa_user_sgpr_dispatch_id 0
		.amdhsa_user_sgpr_private_segment_size 0
		.amdhsa_wavefront_size32 1
		.amdhsa_uses_dynamic_stack 0
		.amdhsa_enable_private_segment 0
		.amdhsa_system_sgpr_workgroup_id_x 1
		.amdhsa_system_sgpr_workgroup_id_y 0
		.amdhsa_system_sgpr_workgroup_id_z 0
		.amdhsa_system_sgpr_workgroup_info 0
		.amdhsa_system_vgpr_workitem_id 0
		.amdhsa_next_free_vgpr 47
		.amdhsa_next_free_sgpr 26
		.amdhsa_reserve_vcc 1
		.amdhsa_float_round_mode_32 0
		.amdhsa_float_round_mode_16_64 0
		.amdhsa_float_denorm_mode_32 3
		.amdhsa_float_denorm_mode_16_64 3
		.amdhsa_dx10_clamp 1
		.amdhsa_ieee_mode 1
		.amdhsa_fp16_overflow 0
		.amdhsa_workgroup_processor_mode 1
		.amdhsa_memory_ordered 1
		.amdhsa_forward_progress 0
		.amdhsa_shared_vgpr_count 0
		.amdhsa_exception_fp_ieee_invalid_op 0
		.amdhsa_exception_fp_denorm_src 0
		.amdhsa_exception_fp_ieee_div_zero 0
		.amdhsa_exception_fp_ieee_overflow 0
		.amdhsa_exception_fp_ieee_underflow 0
		.amdhsa_exception_fp_ieee_inexact 0
		.amdhsa_exception_int_div_zero 0
	.end_amdhsa_kernel
	.section	.text._ZN9rocsparseL29bsrmmnt_small_blockdim_kernelILj64ELj32ELj2EllddddEEv20rocsparse_direction_T3_S2_llNS_24const_host_device_scalarIT7_EEPKT2_PKS2_PKT4_PKT5_llS5_PT6_ll16rocsparse_order_21rocsparse_index_base_b,"axG",@progbits,_ZN9rocsparseL29bsrmmnt_small_blockdim_kernelILj64ELj32ELj2EllddddEEv20rocsparse_direction_T3_S2_llNS_24const_host_device_scalarIT7_EEPKT2_PKS2_PKT4_PKT5_llS5_PT6_ll16rocsparse_order_21rocsparse_index_base_b,comdat
.Lfunc_end43:
	.size	_ZN9rocsparseL29bsrmmnt_small_blockdim_kernelILj64ELj32ELj2EllddddEEv20rocsparse_direction_T3_S2_llNS_24const_host_device_scalarIT7_EEPKT2_PKS2_PKT4_PKT5_llS5_PT6_ll16rocsparse_order_21rocsparse_index_base_b, .Lfunc_end43-_ZN9rocsparseL29bsrmmnt_small_blockdim_kernelILj64ELj32ELj2EllddddEEv20rocsparse_direction_T3_S2_llNS_24const_host_device_scalarIT7_EEPKT2_PKS2_PKT4_PKT5_llS5_PT6_ll16rocsparse_order_21rocsparse_index_base_b
                                        ; -- End function
	.section	.AMDGPU.csdata,"",@progbits
; Kernel info:
; codeLenInByte = 1708
; NumSgprs: 28
; NumVgprs: 47
; ScratchSize: 0
; MemoryBound: 0
; FloatMode: 240
; IeeeMode: 1
; LDSByteSize: 2048 bytes/workgroup (compile time only)
; SGPRBlocks: 3
; VGPRBlocks: 5
; NumSGPRsForWavesPerEU: 28
; NumVGPRsForWavesPerEU: 47
; Occupancy: 16
; WaveLimiterHint : 1
; COMPUTE_PGM_RSRC2:SCRATCH_EN: 0
; COMPUTE_PGM_RSRC2:USER_SGPR: 15
; COMPUTE_PGM_RSRC2:TRAP_HANDLER: 0
; COMPUTE_PGM_RSRC2:TGID_X_EN: 1
; COMPUTE_PGM_RSRC2:TGID_Y_EN: 0
; COMPUTE_PGM_RSRC2:TGID_Z_EN: 0
; COMPUTE_PGM_RSRC2:TIDIG_COMP_CNT: 0
	.section	.text._ZN9rocsparseL29bsrmmnt_small_blockdim_kernelILj64ELj64ELj2EllddddEEv20rocsparse_direction_T3_S2_llNS_24const_host_device_scalarIT7_EEPKT2_PKS2_PKT4_PKT5_llS5_PT6_ll16rocsparse_order_21rocsparse_index_base_b,"axG",@progbits,_ZN9rocsparseL29bsrmmnt_small_blockdim_kernelILj64ELj64ELj2EllddddEEv20rocsparse_direction_T3_S2_llNS_24const_host_device_scalarIT7_EEPKT2_PKS2_PKT4_PKT5_llS5_PT6_ll16rocsparse_order_21rocsparse_index_base_b,comdat
	.globl	_ZN9rocsparseL29bsrmmnt_small_blockdim_kernelILj64ELj64ELj2EllddddEEv20rocsparse_direction_T3_S2_llNS_24const_host_device_scalarIT7_EEPKT2_PKS2_PKT4_PKT5_llS5_PT6_ll16rocsparse_order_21rocsparse_index_base_b ; -- Begin function _ZN9rocsparseL29bsrmmnt_small_blockdim_kernelILj64ELj64ELj2EllddddEEv20rocsparse_direction_T3_S2_llNS_24const_host_device_scalarIT7_EEPKT2_PKS2_PKT4_PKT5_llS5_PT6_ll16rocsparse_order_21rocsparse_index_base_b
	.p2align	8
	.type	_ZN9rocsparseL29bsrmmnt_small_blockdim_kernelILj64ELj64ELj2EllddddEEv20rocsparse_direction_T3_S2_llNS_24const_host_device_scalarIT7_EEPKT2_PKS2_PKT4_PKT5_llS5_PT6_ll16rocsparse_order_21rocsparse_index_base_b,@function
_ZN9rocsparseL29bsrmmnt_small_blockdim_kernelILj64ELj64ELj2EllddddEEv20rocsparse_direction_T3_S2_llNS_24const_host_device_scalarIT7_EEPKT2_PKS2_PKT4_PKT5_llS5_PT6_ll16rocsparse_order_21rocsparse_index_base_b: ; @_ZN9rocsparseL29bsrmmnt_small_blockdim_kernelILj64ELj64ELj2EllddddEEv20rocsparse_direction_T3_S2_llNS_24const_host_device_scalarIT7_EEPKT2_PKS2_PKT4_PKT5_llS5_PT6_ll16rocsparse_order_21rocsparse_index_base_b
; %bb.0:
	s_clause 0x2
	s_load_b128 s[20:23], s[0:1], 0x80
	s_load_b64 s[4:5], s[0:1], 0x28
	s_load_b64 s[2:3], s[0:1], 0x60
	s_waitcnt lgkmcnt(0)
	s_bitcmp1_b32 s22, 0
	v_dual_mov_b32 v1, s4 :: v_dual_mov_b32 v2, s5
	s_cselect_b32 s6, -1, 0
	s_delay_alu instid0(SALU_CYCLE_1)
	s_and_b32 vcc_lo, exec_lo, s6
	s_xor_b32 s6, s6, -1
	s_cbranch_vccnz .LBB44_2
; %bb.1:
	v_dual_mov_b32 v1, s4 :: v_dual_mov_b32 v2, s5
	flat_load_b64 v[1:2], v[1:2]
.LBB44_2:
	v_dual_mov_b32 v4, s3 :: v_dual_mov_b32 v3, s2
	s_and_not1_b32 vcc_lo, exec_lo, s6
	s_cbranch_vccnz .LBB44_4
; %bb.3:
	v_dual_mov_b32 v4, s3 :: v_dual_mov_b32 v3, s2
	flat_load_b64 v[3:4], v[3:4]
.LBB44_4:
	s_waitcnt vmcnt(0) lgkmcnt(0)
	v_cmp_neq_f64_e32 vcc_lo, 0, v[1:2]
	v_cmp_neq_f64_e64 s2, 1.0, v[3:4]
	s_delay_alu instid0(VALU_DEP_1) | instskip(NEXT) | instid1(SALU_CYCLE_1)
	s_or_b32 s2, vcc_lo, s2
	s_and_saveexec_b32 s3, s2
	s_cbranch_execz .LBB44_29
; %bb.5:
	s_clause 0x1
	s_load_b32 s2, s[0:1], 0x9c
	s_load_b128 s[16:19], s[0:1], 0x8
	v_mov_b32_e32 v7, 0
	s_waitcnt lgkmcnt(0)
	s_and_b32 s2, s2, 0xffff
	s_delay_alu instid0(SALU_CYCLE_1) | instskip(NEXT) | instid1(VALU_DEP_1)
	v_mad_u64_u32 v[5:6], null, s15, s2, v[0:1]
	v_lshrrev_b32_e32 v6, 7, v5
	s_delay_alu instid0(VALU_DEP_1)
	v_cmp_gt_i64_e32 vcc_lo, s[16:17], v[6:7]
	s_and_b32 exec_lo, exec_lo, vcc_lo
	s_cbranch_execz .LBB44_29
; %bb.6:
	v_cmp_lt_i64_e64 s2, s[18:19], 1
	s_delay_alu instid0(VALU_DEP_1)
	s_and_b32 vcc_lo, exec_lo, s2
	s_cbranch_vccnz .LBB44_29
; %bb.7:
	s_load_b256 s[4:11], s[0:1], 0x30
	v_lshlrev_b32_e32 v6, 3, v6
	s_load_b128 s[12:15], s[0:1], 0x68
	v_lshrrev_b32_e32 v15, 6, v5
	s_cmp_lg_u32 s20, 1
	v_mov_b32_e32 v10, 0
	s_cselect_b32 s20, -1, 0
	v_lshl_or_b32 v27, v0, 3, 0x600
	s_mov_b32 s3, s21
	s_mov_b64 s[16:17], 0
	s_waitcnt lgkmcnt(0)
	global_load_b128 v[11:14], v6, s[4:5]
	s_load_b64 s[4:5], s[0:1], 0x50
	v_mad_u64_u32 v[6:7], null, v15, s14, 0
	s_load_b32 s1, s[0:1], 0x0
	v_cmp_neq_f64_e64 s0, 0, v[3:4]
	s_delay_alu instid0(VALU_DEP_2) | instskip(SKIP_3) | instid1(VALU_DEP_1)
	v_mad_u64_u32 v[8:9], null, v15, s15, v[7:8]
	v_lshlrev_b32_e32 v15, 3, v15
	v_bfe_u32 v9, v5, 6, 1
	v_mul_u32_u24_e32 v5, 3, v0
	v_dual_mov_b32 v7, v8 :: v_dual_lshlrev_b32 v28, 3, v5
	s_delay_alu instid0(VALU_DEP_1) | instskip(SKIP_3) | instid1(SALU_CYCLE_1)
	v_lshlrev_b64 v[7:8], 3, v[6:7]
	s_waitcnt lgkmcnt(0)
	s_cmp_eq_u32 s1, 0
	s_cselect_b32 s2, -1, 0
	v_cndmask_b32_e64 v16, 0, 1, s2
	s_delay_alu instid0(VALU_DEP_2) | instskip(SKIP_1) | instid1(VALU_DEP_3)
	v_add_co_u32 v29, vcc_lo, s12, v7
	v_add_co_ci_u32_e32 v30, vcc_lo, s13, v8, vcc_lo
	v_lshlrev_b64 v[5:6], v16, v[9:10]
	v_add_co_u32 v31, s12, s12, v15
	s_delay_alu instid0(VALU_DEP_1)
	v_add_co_ci_u32_e64 v32, null, s13, 0, s12
	s_and_b32 s2, s2, exec_lo
	s_waitcnt vmcnt(0)
	v_sub_co_u32 v7, vcc_lo, v11, s21
	v_subrev_co_ci_u32_e32 v8, vcc_lo, 0, v12, vcc_lo
	v_sub_co_u32 v9, vcc_lo, v13, s21
	v_cmp_lt_i64_e64 s1, v[11:12], v[13:14]
	v_subrev_co_ci_u32_e32 v10, vcc_lo, 0, v14, vcc_lo
	s_cselect_b32 s21, 1, 2
	s_lshl_b64 s[12:13], s[4:5], 3
	s_branch .LBB44_9
.LBB44_8:                               ;   in Loop: Header=BB44_9 Depth=1
	s_or_b32 exec_lo, exec_lo, s2
	s_add_u32 s16, s16, 64
	s_addc_u32 s17, s17, 0
	s_delay_alu instid0(SALU_CYCLE_1) | instskip(NEXT) | instid1(VALU_DEP_1)
	v_cmp_lt_i64_e64 s2, s[16:17], s[18:19]
	s_and_b32 vcc_lo, exec_lo, s2
	s_cbranch_vccz .LBB44_29
.LBB44_9:                               ; =>This Loop Header: Depth=1
                                        ;     Child Loop BB44_12 Depth 2
                                        ;       Child Loop BB44_16 Depth 3
	v_mov_b32_e32 v13, 0
	v_or_b32_e64 v12, s17, 0
	v_mov_b32_e32 v14, 0
	v_or_b32_e32 v11, s16, v0
	s_and_saveexec_b32 s22, s1
	s_cbranch_execz .LBB44_18
; %bb.10:                               ;   in Loop: Header=BB44_9 Depth=1
	s_delay_alu instid0(VALU_DEP_1) | instskip(SKIP_3) | instid1(VALU_DEP_4)
	v_lshlrev_b64 v[13:14], 3, v[11:12]
	v_dual_mov_b32 v15, 0 :: v_dual_mov_b32 v18, v8
	v_dual_mov_b32 v16, 0 :: v_dual_mov_b32 v17, v7
	v_cmp_gt_i64_e32 vcc_lo, s[18:19], v[11:12]
	v_add_co_u32 v33, s2, s10, v13
	s_delay_alu instid0(VALU_DEP_1) | instskip(NEXT) | instid1(VALU_DEP_4)
	v_add_co_ci_u32_e64 v34, s2, s11, v14, s2
	v_dual_mov_b32 v13, v15 :: v_dual_mov_b32 v14, v16
	s_mov_b32 s23, 0
	s_branch .LBB44_12
.LBB44_11:                              ;   in Loop: Header=BB44_12 Depth=2
	s_or_b32 exec_lo, exec_lo, s24
	v_add_co_u32 v17, s2, v17, 64
	s_delay_alu instid0(VALU_DEP_1) | instskip(NEXT) | instid1(VALU_DEP_1)
	v_add_co_ci_u32_e64 v18, s2, 0, v18, s2
	v_cmp_ge_i64_e64 s2, v[17:18], v[9:10]
	s_delay_alu instid0(VALU_DEP_1) | instskip(NEXT) | instid1(SALU_CYCLE_1)
	s_or_b32 s23, s2, s23
	s_and_not1_b32 exec_lo, exec_lo, s23
	s_cbranch_execz .LBB44_17
.LBB44_12:                              ;   Parent Loop BB44_9 Depth=1
                                        ; =>  This Loop Header: Depth=2
                                        ;       Child Loop BB44_16 Depth 3
	v_add_co_u32 v21, s2, v17, v0
	s_delay_alu instid0(VALU_DEP_1)
	v_add_co_ci_u32_e64 v22, s2, 0, v18, s2
	v_dual_mov_b32 v26, v16 :: v_dual_mov_b32 v25, v15
	v_dual_mov_b32 v20, v16 :: v_dual_mov_b32 v19, v15
	v_dual_mov_b32 v24, v16 :: v_dual_mov_b32 v23, v15
	s_mov_b32 s24, exec_lo
	v_cmpx_lt_i64_e64 v[21:22], v[9:10]
	s_cbranch_execz .LBB44_14
; %bb.13:                               ;   in Loop: Header=BB44_12 Depth=2
	v_lshlrev_b64 v[19:20], 2, v[21:22]
	v_lshlrev_b64 v[21:22], 3, v[21:22]
	s_delay_alu instid0(VALU_DEP_2) | instskip(NEXT) | instid1(VALU_DEP_3)
	v_or_b32_e32 v20, v20, v6
	v_or_b32_e32 v19, v19, v5
	s_delay_alu instid0(VALU_DEP_3) | instskip(NEXT) | instid1(VALU_DEP_1)
	v_add_co_u32 v21, s2, s6, v21
	v_add_co_ci_u32_e64 v22, s2, s7, v22, s2
	s_delay_alu instid0(VALU_DEP_4) | instskip(NEXT) | instid1(VALU_DEP_4)
	v_or_b32_e32 v24, 0, v20
	v_or_b32_e32 v23, s21, v19
	v_lshlrev_b64 v[19:20], 3, v[19:20]
	global_load_b64 v[21:22], v[21:22], off
	v_lshlrev_b64 v[23:24], 3, v[23:24]
	v_add_co_u32 v19, s2, s8, v19
	s_delay_alu instid0(VALU_DEP_1) | instskip(NEXT) | instid1(VALU_DEP_3)
	v_add_co_ci_u32_e64 v20, s2, s9, v20, s2
	v_add_co_u32 v23, s2, s8, v23
	s_delay_alu instid0(VALU_DEP_1)
	v_add_co_ci_u32_e64 v24, s2, s9, v24, s2
	s_clause 0x1
	global_load_b64 v[19:20], v[19:20], off
	global_load_b64 v[23:24], v[23:24], off
	s_waitcnt vmcnt(2)
	v_sub_co_u32 v21, s2, v21, s3
	s_delay_alu instid0(VALU_DEP_1) | instskip(NEXT) | instid1(VALU_DEP_1)
	v_subrev_co_ci_u32_e64 v22, s2, 0, v22, s2
	v_lshlrev_b64 v[25:26], 1, v[21:22]
.LBB44_14:                              ;   in Loop: Header=BB44_12 Depth=2
	s_or_b32 exec_lo, exec_lo, s24
	ds_store_b64 v27, v[25:26]
	s_waitcnt vmcnt(0)
	ds_store_2addr_b64 v28, v[19:20], v[23:24] offset1:1
	s_waitcnt lgkmcnt(0)
	s_waitcnt_vscnt null, 0x0
	s_barrier
	buffer_gl0_inv
	s_and_saveexec_b32 s24, vcc_lo
	s_cbranch_execz .LBB44_11
; %bb.15:                               ;   in Loop: Header=BB44_12 Depth=2
	v_mov_b32_e32 v19, 0
	s_mov_b32 s25, 0
.LBB44_16:                              ;   Parent Loop BB44_9 Depth=1
                                        ;     Parent Loop BB44_12 Depth=2
                                        ; =>    This Inner Loop Header: Depth=3
	s_delay_alu instid0(SALU_CYCLE_1) | instskip(SKIP_1) | instid1(SALU_CYCLE_1)
	v_add_nc_u32_e64 v20, 0x600, s25
	s_add_i32 s25, s25, 16
	s_cmpk_lg_i32 s25, 0x200
	ds_load_b128 v[20:23], v20
	s_waitcnt lgkmcnt(0)
	v_mul_lo_u32 v21, v21, s4
	v_mul_lo_u32 v26, v20, s5
	v_mad_u64_u32 v[24:25], null, v20, s4, 0
	v_mul_lo_u32 v23, v23, s4
	s_delay_alu instid0(VALU_DEP_2) | instskip(SKIP_1) | instid1(VALU_DEP_2)
	v_add3_u32 v25, v25, v26, v21
	v_mul_lo_u32 v26, v22, s5
	v_lshlrev_b64 v[20:21], 3, v[24:25]
	s_delay_alu instid0(VALU_DEP_1) | instskip(NEXT) | instid1(VALU_DEP_1)
	v_add_co_u32 v20, s2, v33, v20
	v_add_co_ci_u32_e64 v21, s2, v34, v21, s2
	global_load_b64 v[24:25], v[20:21], off
	v_add_co_u32 v20, s2, v20, s12
	s_delay_alu instid0(VALU_DEP_1) | instskip(SKIP_2) | instid1(VALU_DEP_1)
	v_add_co_ci_u32_e64 v21, s2, s13, v21, s2
	global_load_b64 v[39:40], v[20:21], off
	v_mad_u64_u32 v[20:21], null, v22, s4, 0
	v_add3_u32 v21, v21, v26, v23
	s_delay_alu instid0(VALU_DEP_1) | instskip(NEXT) | instid1(VALU_DEP_1)
	v_lshlrev_b64 v[20:21], 3, v[20:21]
	v_add_co_u32 v20, s2, v33, v20
	s_delay_alu instid0(VALU_DEP_1) | instskip(SKIP_2) | instid1(VALU_DEP_1)
	v_add_co_ci_u32_e64 v21, s2, v34, v21, s2
	global_load_b64 v[41:42], v[20:21], off
	v_add_co_u32 v20, s2, v20, s12
	v_add_co_ci_u32_e64 v21, s2, s13, v21, s2
	global_load_b64 v[43:44], v[20:21], off
	ds_load_b128 v[20:23], v19
	ds_load_2addr_b64 v[35:38], v19 offset0:3 offset1:4
	v_add_nc_u32_e32 v19, 48, v19
	s_waitcnt vmcnt(3) lgkmcnt(1)
	v_fma_f64 v[13:14], v[20:21], v[24:25], v[13:14]
	s_waitcnt vmcnt(2)
	s_delay_alu instid0(VALU_DEP_1) | instskip(SKIP_1) | instid1(VALU_DEP_1)
	v_fma_f64 v[13:14], v[22:23], v[39:40], v[13:14]
	s_waitcnt vmcnt(1) lgkmcnt(0)
	v_fma_f64 v[13:14], v[35:36], v[41:42], v[13:14]
	s_waitcnt vmcnt(0)
	s_delay_alu instid0(VALU_DEP_1)
	v_fma_f64 v[13:14], v[37:38], v[43:44], v[13:14]
	s_cbranch_scc1 .LBB44_16
	s_branch .LBB44_11
.LBB44_17:                              ;   in Loop: Header=BB44_9 Depth=1
	s_or_b32 exec_lo, exec_lo, s23
.LBB44_18:                              ;   in Loop: Header=BB44_9 Depth=1
	s_delay_alu instid0(SALU_CYCLE_1) | instskip(NEXT) | instid1(SALU_CYCLE_1)
	s_or_b32 exec_lo, exec_lo, s22
	s_mov_b32 s2, exec_lo
	v_cmpx_gt_i64_e64 s[18:19], v[11:12]
	s_cbranch_execz .LBB44_8
; %bb.19:                               ;   in Loop: Header=BB44_9 Depth=1
	s_and_saveexec_b32 s22, s0
	s_delay_alu instid0(SALU_CYCLE_1)
	s_xor_b32 s22, exec_lo, s22
	s_cbranch_execz .LBB44_24
; %bb.20:                               ;   in Loop: Header=BB44_9 Depth=1
	s_and_b32 vcc_lo, exec_lo, s20
	s_mov_b32 s23, -1
	s_cbranch_vccz .LBB44_22
; %bb.21:                               ;   in Loop: Header=BB44_9 Depth=1
	v_lshlrev_b64 v[15:16], 3, v[11:12]
	s_delay_alu instid0(VALU_DEP_4) | instskip(SKIP_1) | instid1(VALU_DEP_2)
	v_mul_f64 v[19:20], v[1:2], v[13:14]
	s_mov_b32 s23, 0
	v_add_co_u32 v15, vcc_lo, v29, v15
	s_delay_alu instid0(VALU_DEP_3)
	v_add_co_ci_u32_e32 v16, vcc_lo, v30, v16, vcc_lo
	global_load_b64 v[17:18], v[15:16], off
	s_waitcnt vmcnt(0)
	v_fma_f64 v[17:18], v[3:4], v[17:18], v[19:20]
	global_store_b64 v[15:16], v[17:18], off
.LBB44_22:                              ;   in Loop: Header=BB44_9 Depth=1
	s_and_not1_b32 vcc_lo, exec_lo, s23
	s_cbranch_vccnz .LBB44_24
; %bb.23:                               ;   in Loop: Header=BB44_9 Depth=1
	v_mul_lo_u32 v12, v12, s14
	v_mul_lo_u32 v17, v11, s15
	v_mad_u64_u32 v[15:16], null, v11, s14, 0
	v_mul_f64 v[13:14], v[1:2], v[13:14]
	s_delay_alu instid0(VALU_DEP_2) | instskip(NEXT) | instid1(VALU_DEP_1)
	v_add3_u32 v16, v16, v17, v12
	v_lshlrev_b64 v[11:12], 3, v[15:16]
	s_delay_alu instid0(VALU_DEP_1) | instskip(NEXT) | instid1(VALU_DEP_2)
	v_add_co_u32 v11, vcc_lo, v31, v11
	v_add_co_ci_u32_e32 v12, vcc_lo, v32, v12, vcc_lo
	global_load_b64 v[15:16], v[11:12], off
	s_waitcnt vmcnt(0)
	v_fma_f64 v[13:14], v[3:4], v[15:16], v[13:14]
	global_store_b64 v[11:12], v[13:14], off
                                        ; implicit-def: $vgpr11_vgpr12
                                        ; implicit-def: $vgpr13_vgpr14
.LBB44_24:                              ;   in Loop: Header=BB44_9 Depth=1
	s_and_not1_saveexec_b32 s22, s22
	s_cbranch_execz .LBB44_8
; %bb.25:                               ;   in Loop: Header=BB44_9 Depth=1
	s_delay_alu instid0(VALU_DEP_3)
	v_mul_f64 v[13:14], v[1:2], v[13:14]
	s_and_b32 vcc_lo, exec_lo, s20
	s_mov_b32 s22, -1
	s_cbranch_vccz .LBB44_27
; %bb.26:                               ;   in Loop: Header=BB44_9 Depth=1
	v_lshlrev_b64 v[15:16], 3, v[11:12]
	s_mov_b32 s22, 0
	s_delay_alu instid0(VALU_DEP_1) | instskip(NEXT) | instid1(VALU_DEP_2)
	v_add_co_u32 v15, vcc_lo, v29, v15
	v_add_co_ci_u32_e32 v16, vcc_lo, v30, v16, vcc_lo
	global_store_b64 v[15:16], v[13:14], off
.LBB44_27:                              ;   in Loop: Header=BB44_9 Depth=1
	s_and_not1_b32 vcc_lo, exec_lo, s22
	s_cbranch_vccnz .LBB44_8
; %bb.28:                               ;   in Loop: Header=BB44_9 Depth=1
	v_mul_lo_u32 v12, v12, s14
	v_mul_lo_u32 v17, v11, s15
	v_mad_u64_u32 v[15:16], null, v11, s14, 0
	s_delay_alu instid0(VALU_DEP_1) | instskip(NEXT) | instid1(VALU_DEP_1)
	v_add3_u32 v16, v16, v17, v12
	v_lshlrev_b64 v[11:12], 3, v[15:16]
	s_delay_alu instid0(VALU_DEP_1) | instskip(NEXT) | instid1(VALU_DEP_2)
	v_add_co_u32 v11, vcc_lo, v31, v11
	v_add_co_ci_u32_e32 v12, vcc_lo, v32, v12, vcc_lo
	global_store_b64 v[11:12], v[13:14], off
	s_branch .LBB44_8
.LBB44_29:
	s_nop 0
	s_sendmsg sendmsg(MSG_DEALLOC_VGPRS)
	s_endpgm
	.section	.rodata,"a",@progbits
	.p2align	6, 0x0
	.amdhsa_kernel _ZN9rocsparseL29bsrmmnt_small_blockdim_kernelILj64ELj64ELj2EllddddEEv20rocsparse_direction_T3_S2_llNS_24const_host_device_scalarIT7_EEPKT2_PKS2_PKT4_PKT5_llS5_PT6_ll16rocsparse_order_21rocsparse_index_base_b
		.amdhsa_group_segment_fixed_size 2048
		.amdhsa_private_segment_fixed_size 0
		.amdhsa_kernarg_size 400
		.amdhsa_user_sgpr_count 15
		.amdhsa_user_sgpr_dispatch_ptr 0
		.amdhsa_user_sgpr_queue_ptr 0
		.amdhsa_user_sgpr_kernarg_segment_ptr 1
		.amdhsa_user_sgpr_dispatch_id 0
		.amdhsa_user_sgpr_private_segment_size 0
		.amdhsa_wavefront_size32 1
		.amdhsa_uses_dynamic_stack 0
		.amdhsa_enable_private_segment 0
		.amdhsa_system_sgpr_workgroup_id_x 1
		.amdhsa_system_sgpr_workgroup_id_y 0
		.amdhsa_system_sgpr_workgroup_id_z 0
		.amdhsa_system_sgpr_workgroup_info 0
		.amdhsa_system_vgpr_workitem_id 0
		.amdhsa_next_free_vgpr 45
		.amdhsa_next_free_sgpr 26
		.amdhsa_reserve_vcc 1
		.amdhsa_float_round_mode_32 0
		.amdhsa_float_round_mode_16_64 0
		.amdhsa_float_denorm_mode_32 3
		.amdhsa_float_denorm_mode_16_64 3
		.amdhsa_dx10_clamp 1
		.amdhsa_ieee_mode 1
		.amdhsa_fp16_overflow 0
		.amdhsa_workgroup_processor_mode 1
		.amdhsa_memory_ordered 1
		.amdhsa_forward_progress 0
		.amdhsa_shared_vgpr_count 0
		.amdhsa_exception_fp_ieee_invalid_op 0
		.amdhsa_exception_fp_denorm_src 0
		.amdhsa_exception_fp_ieee_div_zero 0
		.amdhsa_exception_fp_ieee_overflow 0
		.amdhsa_exception_fp_ieee_underflow 0
		.amdhsa_exception_fp_ieee_inexact 0
		.amdhsa_exception_int_div_zero 0
	.end_amdhsa_kernel
	.section	.text._ZN9rocsparseL29bsrmmnt_small_blockdim_kernelILj64ELj64ELj2EllddddEEv20rocsparse_direction_T3_S2_llNS_24const_host_device_scalarIT7_EEPKT2_PKS2_PKT4_PKT5_llS5_PT6_ll16rocsparse_order_21rocsparse_index_base_b,"axG",@progbits,_ZN9rocsparseL29bsrmmnt_small_blockdim_kernelILj64ELj64ELj2EllddddEEv20rocsparse_direction_T3_S2_llNS_24const_host_device_scalarIT7_EEPKT2_PKS2_PKT4_PKT5_llS5_PT6_ll16rocsparse_order_21rocsparse_index_base_b,comdat
.Lfunc_end44:
	.size	_ZN9rocsparseL29bsrmmnt_small_blockdim_kernelILj64ELj64ELj2EllddddEEv20rocsparse_direction_T3_S2_llNS_24const_host_device_scalarIT7_EEPKT2_PKS2_PKT4_PKT5_llS5_PT6_ll16rocsparse_order_21rocsparse_index_base_b, .Lfunc_end44-_ZN9rocsparseL29bsrmmnt_small_blockdim_kernelILj64ELj64ELj2EllddddEEv20rocsparse_direction_T3_S2_llNS_24const_host_device_scalarIT7_EEPKT2_PKS2_PKT4_PKT5_llS5_PT6_ll16rocsparse_order_21rocsparse_index_base_b
                                        ; -- End function
	.section	.AMDGPU.csdata,"",@progbits
; Kernel info:
; codeLenInByte = 1672
; NumSgprs: 28
; NumVgprs: 45
; ScratchSize: 0
; MemoryBound: 0
; FloatMode: 240
; IeeeMode: 1
; LDSByteSize: 2048 bytes/workgroup (compile time only)
; SGPRBlocks: 3
; VGPRBlocks: 5
; NumSGPRsForWavesPerEU: 28
; NumVGPRsForWavesPerEU: 45
; Occupancy: 16
; WaveLimiterHint : 1
; COMPUTE_PGM_RSRC2:SCRATCH_EN: 0
; COMPUTE_PGM_RSRC2:USER_SGPR: 15
; COMPUTE_PGM_RSRC2:TRAP_HANDLER: 0
; COMPUTE_PGM_RSRC2:TGID_X_EN: 1
; COMPUTE_PGM_RSRC2:TGID_Y_EN: 0
; COMPUTE_PGM_RSRC2:TGID_Z_EN: 0
; COMPUTE_PGM_RSRC2:TIDIG_COMP_CNT: 0
	.section	.text._ZN9rocsparseL29bsrmmnt_small_blockdim_kernelILj64ELj8ELj2Eii21rocsparse_complex_numIfES2_S2_S2_EEv20rocsparse_direction_T3_S4_llNS_24const_host_device_scalarIT7_EEPKT2_PKS4_PKT4_PKT5_llS7_PT6_ll16rocsparse_order_21rocsparse_index_base_b,"axG",@progbits,_ZN9rocsparseL29bsrmmnt_small_blockdim_kernelILj64ELj8ELj2Eii21rocsparse_complex_numIfES2_S2_S2_EEv20rocsparse_direction_T3_S4_llNS_24const_host_device_scalarIT7_EEPKT2_PKS4_PKT4_PKT5_llS7_PT6_ll16rocsparse_order_21rocsparse_index_base_b,comdat
	.globl	_ZN9rocsparseL29bsrmmnt_small_blockdim_kernelILj64ELj8ELj2Eii21rocsparse_complex_numIfES2_S2_S2_EEv20rocsparse_direction_T3_S4_llNS_24const_host_device_scalarIT7_EEPKT2_PKS4_PKT4_PKT5_llS7_PT6_ll16rocsparse_order_21rocsparse_index_base_b ; -- Begin function _ZN9rocsparseL29bsrmmnt_small_blockdim_kernelILj64ELj8ELj2Eii21rocsparse_complex_numIfES2_S2_S2_EEv20rocsparse_direction_T3_S4_llNS_24const_host_device_scalarIT7_EEPKT2_PKS4_PKT4_PKT5_llS7_PT6_ll16rocsparse_order_21rocsparse_index_base_b
	.p2align	8
	.type	_ZN9rocsparseL29bsrmmnt_small_blockdim_kernelILj64ELj8ELj2Eii21rocsparse_complex_numIfES2_S2_S2_EEv20rocsparse_direction_T3_S4_llNS_24const_host_device_scalarIT7_EEPKT2_PKS4_PKT4_PKT5_llS7_PT6_ll16rocsparse_order_21rocsparse_index_base_b,@function
_ZN9rocsparseL29bsrmmnt_small_blockdim_kernelILj64ELj8ELj2Eii21rocsparse_complex_numIfES2_S2_S2_EEv20rocsparse_direction_T3_S4_llNS_24const_host_device_scalarIT7_EEPKT2_PKS4_PKT4_PKT5_llS7_PT6_ll16rocsparse_order_21rocsparse_index_base_b: ; @_ZN9rocsparseL29bsrmmnt_small_blockdim_kernelILj64ELj8ELj2Eii21rocsparse_complex_numIfES2_S2_S2_EEv20rocsparse_direction_T3_S4_llNS_24const_host_device_scalarIT7_EEPKT2_PKS4_PKT4_PKT5_llS7_PT6_ll16rocsparse_order_21rocsparse_index_base_b
; %bb.0:
	s_clause 0x2
	s_load_b128 s[16:19], s[0:1], 0x78
	s_load_b64 s[4:5], s[0:1], 0x20
	s_load_b64 s[2:3], s[0:1], 0x58
	s_waitcnt lgkmcnt(0)
	s_bitcmp1_b32 s18, 0
	v_mov_b32_e32 v10, s4
	s_cselect_b32 s6, -1, 0
	s_delay_alu instid0(SALU_CYCLE_1)
	s_and_b32 vcc_lo, exec_lo, s6
	s_xor_b32 s6, s6, -1
	s_cbranch_vccz .LBB45_33
; %bb.1:
	v_cndmask_b32_e64 v1, 0, 1, s6
	v_mov_b32_e32 v11, s5
	s_and_not1_b32 vcc_lo, exec_lo, s6
	s_cbranch_vccz .LBB45_34
.LBB45_2:
	s_delay_alu instid0(VALU_DEP_2)
	v_cmp_ne_u32_e32 vcc_lo, 1, v1
	v_mov_b32_e32 v12, s2
	s_cbranch_vccz .LBB45_35
.LBB45_3:
	v_cmp_ne_u32_e32 vcc_lo, 1, v1
	v_mov_b32_e32 v13, s3
	s_cbranch_vccnz .LBB45_5
.LBB45_4:
	v_dual_mov_b32 v1, s2 :: v_dual_mov_b32 v2, s3
	flat_load_b32 v13, v[1:2] offset:4
.LBB45_5:
	s_waitcnt vmcnt(0) lgkmcnt(0)
	v_cmp_eq_f32_e32 vcc_lo, 0, v10
	v_cmp_eq_f32_e64 s2, 0, v11
	s_delay_alu instid0(VALU_DEP_1)
	s_and_b32 s4, vcc_lo, s2
	s_mov_b32 s2, -1
	s_and_saveexec_b32 s3, s4
; %bb.6:
	v_cmp_neq_f32_e32 vcc_lo, 1.0, v12
	v_cmp_neq_f32_e64 s2, 0, v13
	s_delay_alu instid0(VALU_DEP_1) | instskip(NEXT) | instid1(SALU_CYCLE_1)
	s_or_b32 s2, vcc_lo, s2
	s_or_not1_b32 s2, s2, exec_lo
; %bb.7:
	s_or_b32 exec_lo, exec_lo, s3
	s_and_saveexec_b32 s3, s2
	s_cbranch_execz .LBB45_32
; %bb.8:
	s_clause 0x1
	s_load_b32 s2, s[0:1], 0x94
	s_load_b128 s[20:23], s[0:1], 0x0
	s_waitcnt lgkmcnt(0)
	s_and_b32 s2, s2, 0xffff
	s_delay_alu instid0(SALU_CYCLE_1) | instskip(NEXT) | instid1(VALU_DEP_1)
	v_mad_u64_u32 v[1:2], null, s15, s2, v[0:1]
	v_lshrrev_b32_e32 v2, 4, v1
	s_delay_alu instid0(VALU_DEP_1)
	v_cmp_gt_i32_e32 vcc_lo, s21, v2
	s_and_b32 exec_lo, exec_lo, vcc_lo
	s_cbranch_execz .LBB45_32
; %bb.9:
	s_cmp_lt_i32 s22, 1
	s_cbranch_scc1 .LBB45_32
; %bb.10:
	s_load_b256 s[4:11], s[0:1], 0x28
	v_lshlrev_b32_e32 v2, 2, v2
	s_clause 0x1
	s_load_b128 s[12:15], s[0:1], 0x60
	s_load_b64 s[2:3], s[0:1], 0x48
	v_lshrrev_b32_e32 v7, 3, v1
	v_and_b32_e32 v14, 7, v0
	v_cmp_neq_f32_e32 vcc_lo, 0, v12
	v_cmp_neq_f32_e64 s0, 0, v13
	v_bfe_u32 v8, v1, 3, 1
	v_lshrrev_b32_e32 v9, 3, v0
	v_and_b32_e32 v20, -8, v1
	v_mul_u32_u24_e32 v1, 3, v14
	s_delay_alu instid0(VALU_DEP_3) | instskip(SKIP_1) | instid1(VALU_DEP_2)
	v_lshl_or_b32 v15, v9, 5, 0x600
	v_mul_u32_u24_e32 v16, 0xc0, v9
	v_lshl_or_b32 v17, v14, 2, v15
	s_waitcnt lgkmcnt(0)
	global_load_b64 v[2:3], v2, s[4:5]
	s_or_b32 s4, vcc_lo, s0
	v_mad_u64_u32 v[4:5], null, v7, s14, 0
	s_cmp_lg_u32 s16, 1
	v_add_co_u32 v20, s0, s12, v20
	s_cselect_b32 s5, -1, 0
	s_cmp_eq_u32 s20, 0
	v_add_co_ci_u32_e64 v21, null, s13, 0, s0
	s_delay_alu instid0(VALU_DEP_3) | instskip(SKIP_1) | instid1(VALU_DEP_1)
	v_mov_b32_e32 v0, v5
	s_cselect_b32 s1, -1, 0
	v_mad_u64_u32 v[5:6], null, v7, s15, v[0:1]
	v_lshlrev_b32_e32 v0, 3, v1
	v_cndmask_b32_e64 v1, 0, 1, s1
	s_and_b32 s1, s1, exec_lo
	s_delay_alu instid0(VALU_DEP_2) | instskip(NEXT) | instid1(VALU_DEP_2)
	v_mad_u32_u24 v18, 0xc0, v9, v0
	v_lshlrev_b32_e32 v19, v1, v8
	v_lshlrev_b64 v[0:1], 3, v[4:5]
	s_delay_alu instid0(VALU_DEP_1) | instskip(NEXT) | instid1(VALU_DEP_2)
	v_add_co_u32 v22, vcc_lo, s12, v0
	v_add_co_ci_u32_e32 v23, vcc_lo, s13, v1, vcc_lo
	v_mov_b32_e32 v1, 0
	s_mov_b32 s12, 0
	s_cselect_b32 s13, 1, 2
	s_waitcnt vmcnt(0)
	v_subrev_nc_u32_e32 v24, s17, v2
	v_subrev_nc_u32_e32 v25, s17, v3
	v_cmp_lt_i32_e64 s0, v2, v3
	s_branch .LBB45_12
.LBB45_11:                              ;   in Loop: Header=BB45_12 Depth=1
	s_or_b32 exec_lo, exec_lo, s1
	s_add_i32 s12, s12, 8
	s_delay_alu instid0(SALU_CYCLE_1)
	s_cmp_lt_i32 s12, s22
	s_cbranch_scc0 .LBB45_32
.LBB45_12:                              ; =>This Loop Header: Depth=1
                                        ;     Child Loop BB45_15 Depth 2
                                        ;       Child Loop BB45_19 Depth 3
	v_or_b32_e32 v2, s12, v14
	v_mov_b32_e32 v26, v1
	v_mov_b32_e32 v27, v1
	s_delay_alu instid0(VALU_DEP_3)
	v_ashrrev_i32_e32 v3, 31, v2
	s_and_saveexec_b32 s16, s0
	s_cbranch_execz .LBB45_21
; %bb.13:                               ;   in Loop: Header=BB45_12 Depth=1
	s_delay_alu instid0(VALU_DEP_1) | instskip(SKIP_4) | instid1(VALU_DEP_4)
	v_lshlrev_b64 v[4:5], 3, v[2:3]
	v_cmp_gt_i32_e32 vcc_lo, s22, v2
	v_dual_mov_b32 v26, 0 :: v_dual_mov_b32 v27, 0
	v_mov_b32_e32 v30, v24
	s_mov_b32 s18, 0
	v_add_co_u32 v28, s1, s10, v4
	s_delay_alu instid0(VALU_DEP_1)
	v_add_co_ci_u32_e64 v29, s1, s11, v5, s1
	s_branch .LBB45_15
.LBB45_14:                              ;   in Loop: Header=BB45_15 Depth=2
	s_or_b32 exec_lo, exec_lo, s19
	v_add_nc_u32_e32 v30, 8, v30
	s_delay_alu instid0(VALU_DEP_1) | instskip(NEXT) | instid1(VALU_DEP_1)
	v_cmp_ge_i32_e64 s1, v30, v25
	s_or_b32 s18, s1, s18
	s_delay_alu instid0(SALU_CYCLE_1)
	s_and_not1_b32 exec_lo, exec_lo, s18
	s_cbranch_execz .LBB45_20
.LBB45_15:                              ;   Parent Loop BB45_12 Depth=1
                                        ; =>  This Loop Header: Depth=2
                                        ;       Child Loop BB45_19 Depth 3
	v_dual_mov_b32 v5, 0 :: v_dual_add_nc_u32 v8, v30, v14
	v_dual_mov_b32 v0, 0 :: v_dual_mov_b32 v7, 0
	v_mov_b32_e32 v4, 0
	v_mov_b32_e32 v6, 0
	s_mov_b32 s19, exec_lo
	v_cmpx_lt_i32_e64 v8, v25
	s_cbranch_execz .LBB45_17
; %bb.16:                               ;   in Loop: Header=BB45_15 Depth=2
	v_ashrrev_i32_e32 v9, 31, v8
	v_lshl_or_b32 v0, v8, 2, v19
	s_delay_alu instid0(VALU_DEP_2) | instskip(NEXT) | instid1(VALU_DEP_2)
	v_lshlrev_b64 v[4:5], 2, v[8:9]
	v_lshlrev_b64 v[6:7], 3, v[0:1]
	v_or_b32_e32 v0, s13, v0
	s_delay_alu instid0(VALU_DEP_3) | instskip(NEXT) | instid1(VALU_DEP_1)
	v_add_co_u32 v4, s1, s6, v4
	v_add_co_ci_u32_e64 v5, s1, s7, v5, s1
	s_delay_alu instid0(VALU_DEP_3) | instskip(SKIP_2) | instid1(VALU_DEP_1)
	v_lshlrev_b64 v[8:9], 3, v[0:1]
	global_load_b32 v0, v[4:5], off
	v_add_co_u32 v4, s1, s8, v6
	v_add_co_ci_u32_e64 v5, s1, s9, v7, s1
	v_add_co_u32 v6, s1, s8, v8
	s_delay_alu instid0(VALU_DEP_1)
	v_add_co_ci_u32_e64 v7, s1, s9, v9, s1
	s_clause 0x1
	global_load_b64 v[4:5], v[4:5], off
	global_load_b64 v[6:7], v[6:7], off
	s_waitcnt vmcnt(2)
	v_subrev_nc_u32_e32 v0, s17, v0
	s_delay_alu instid0(VALU_DEP_1)
	v_lshlrev_b32_e32 v0, 1, v0
.LBB45_17:                              ;   in Loop: Header=BB45_15 Depth=2
	s_or_b32 exec_lo, exec_lo, s19
	ds_store_b32 v17, v0
	s_waitcnt vmcnt(0)
	ds_store_2addr_b64 v18, v[4:5], v[6:7] offset1:1
	s_waitcnt lgkmcnt(0)
	s_waitcnt_vscnt null, 0x0
	s_barrier
	buffer_gl0_inv
	s_and_saveexec_b32 s19, vcc_lo
	s_cbranch_execz .LBB45_14
; %bb.18:                               ;   in Loop: Header=BB45_15 Depth=2
	v_mov_b32_e32 v0, v16
	s_mov_b32 s20, 0
.LBB45_19:                              ;   Parent Loop BB45_12 Depth=1
                                        ;     Parent Loop BB45_15 Depth=2
                                        ; =>    This Inner Loop Header: Depth=3
	s_delay_alu instid0(SALU_CYCLE_1) | instskip(SKIP_1) | instid1(SALU_CYCLE_1)
	v_add_nc_u32_e32 v4, s20, v15
	s_add_i32 s20, s20, 8
	s_cmp_lg_u32 s20, 32
	ds_load_b64 v[4:5], v4
	s_waitcnt lgkmcnt(0)
	v_ashrrev_i32_e32 v31, 31, v4
	v_mul_lo_u32 v33, v4, s3
	v_mad_u64_u32 v[6:7], null, v4, s2, 0
	v_add_nc_u32_e32 v32, 1, v4
	s_delay_alu instid0(VALU_DEP_4)
	v_mul_lo_u32 v37, v31, s2
	v_add_nc_u32_e32 v36, 1, v5
	v_ashrrev_i32_e32 v34, 31, v5
	v_mul_lo_u32 v35, v5, s3
	v_ashrrev_i32_e32 v38, 31, v32
	v_mad_u64_u32 v[8:9], null, v5, s2, 0
	v_mul_lo_u32 v39, v32, s3
	v_add3_u32 v7, v7, v33, v37
	v_mad_u64_u32 v[4:5], null, v32, s2, 0
	v_ashrrev_i32_e32 v40, 31, v36
	v_mul_lo_u32 v41, v36, s3
	v_mad_u64_u32 v[31:32], null, v36, s2, 0
	v_mul_lo_u32 v36, v38, s2
	v_lshlrev_b64 v[6:7], 3, v[6:7]
	v_mul_lo_u32 v34, v34, s2
	v_mul_lo_u32 v38, v40, s2
	s_delay_alu instid0(VALU_DEP_3) | instskip(SKIP_4) | instid1(VALU_DEP_4)
	v_add_co_u32 v6, s1, v28, v6
	v_add3_u32 v5, v5, v39, v36
	v_add_co_ci_u32_e64 v7, s1, v29, v7, s1
	v_add3_u32 v9, v9, v35, v34
	v_add3_u32 v32, v32, v41, v38
	v_lshlrev_b64 v[4:5], 3, v[4:5]
	global_load_b64 v[35:36], v[6:7], off
	v_lshlrev_b64 v[6:7], 3, v[8:9]
	v_add_co_u32 v4, s1, v28, v4
	s_delay_alu instid0(VALU_DEP_1) | instskip(SKIP_2) | instid1(VALU_DEP_1)
	v_add_co_ci_u32_e64 v5, s1, v29, v5, s1
	global_load_b64 v[8:9], v[4:5], off
	v_add_co_u32 v4, s1, v28, v6
	v_add_co_ci_u32_e64 v5, s1, v29, v7, s1
	v_lshlrev_b64 v[6:7], 3, v[31:32]
	global_load_b64 v[37:38], v[4:5], off
	v_add_co_u32 v4, s1, v28, v6
	s_delay_alu instid0(VALU_DEP_1)
	v_add_co_ci_u32_e64 v5, s1, v29, v7, s1
	global_load_b64 v[39:40], v[4:5], off
	ds_load_b128 v[4:7], v0
	ds_load_2addr_b64 v[31:34], v0 offset0:3 offset1:4
	s_waitcnt vmcnt(3) lgkmcnt(1)
	v_dual_fmac_f32 v27, v4, v35 :: v_dual_add_nc_u32 v0, 48, v0
	v_fmac_f32_e32 v26, v5, v35
	s_delay_alu instid0(VALU_DEP_2) | instskip(NEXT) | instid1(VALU_DEP_2)
	v_fma_f32 v5, -v5, v36, v27
	v_fmac_f32_e32 v26, v4, v36
	s_waitcnt vmcnt(2)
	s_delay_alu instid0(VALU_DEP_2) | instskip(NEXT) | instid1(VALU_DEP_2)
	v_fmac_f32_e32 v5, v6, v8
	v_fmac_f32_e32 v26, v7, v8
	s_delay_alu instid0(VALU_DEP_2) | instskip(NEXT) | instid1(VALU_DEP_2)
	v_fma_f32 v4, -v7, v9, v5
	v_fmac_f32_e32 v26, v6, v9
	s_waitcnt vmcnt(1) lgkmcnt(0)
	s_delay_alu instid0(VALU_DEP_2) | instskip(NEXT) | instid1(VALU_DEP_2)
	v_fmac_f32_e32 v4, v31, v37
	v_fmac_f32_e32 v26, v32, v37
	s_delay_alu instid0(VALU_DEP_2) | instskip(NEXT) | instid1(VALU_DEP_2)
	v_fma_f32 v4, -v32, v38, v4
	v_fmac_f32_e32 v26, v31, v38
	s_waitcnt vmcnt(0)
	s_delay_alu instid0(VALU_DEP_2) | instskip(NEXT) | instid1(VALU_DEP_2)
	v_fmac_f32_e32 v4, v33, v39
	v_fmac_f32_e32 v26, v34, v39
	s_delay_alu instid0(VALU_DEP_2) | instskip(NEXT) | instid1(VALU_DEP_2)
	v_fma_f32 v27, -v34, v40, v4
	v_fmac_f32_e32 v26, v33, v40
	s_cbranch_scc1 .LBB45_19
	s_branch .LBB45_14
.LBB45_20:                              ;   in Loop: Header=BB45_12 Depth=1
	s_or_b32 exec_lo, exec_lo, s18
.LBB45_21:                              ;   in Loop: Header=BB45_12 Depth=1
	s_delay_alu instid0(SALU_CYCLE_1) | instskip(NEXT) | instid1(SALU_CYCLE_1)
	s_or_b32 exec_lo, exec_lo, s16
	s_mov_b32 s1, exec_lo
	v_cmpx_gt_i32_e64 s22, v2
	s_cbranch_execz .LBB45_11
; %bb.22:                               ;   in Loop: Header=BB45_12 Depth=1
	s_and_saveexec_b32 s16, s4
	s_delay_alu instid0(SALU_CYCLE_1)
	s_xor_b32 s16, exec_lo, s16
	s_cbranch_execz .LBB45_27
; %bb.23:                               ;   in Loop: Header=BB45_12 Depth=1
	s_and_b32 vcc_lo, exec_lo, s5
	s_mov_b32 s18, -1
	s_cbranch_vccz .LBB45_25
; %bb.24:                               ;   in Loop: Header=BB45_12 Depth=1
	v_lshlrev_b64 v[4:5], 3, v[2:3]
	v_mul_f32_e64 v0, v26, -v11
	v_mul_f32_e32 v9, v26, v10
	s_mov_b32 s18, 0
	s_delay_alu instid0(VALU_DEP_3) | instskip(NEXT) | instid1(VALU_DEP_4)
	v_add_co_u32 v4, vcc_lo, v22, v4
	v_add_co_ci_u32_e32 v5, vcc_lo, v23, v5, vcc_lo
	global_load_b64 v[6:7], v[4:5], off
	v_fmac_f32_e32 v9, v11, v27
	s_waitcnt vmcnt(0)
	s_delay_alu instid0(VALU_DEP_1) | instskip(NEXT) | instid1(VALU_DEP_1)
	v_dual_fmac_f32 v0, v10, v27 :: v_dual_fmac_f32 v9, v13, v6
	v_fmac_f32_e32 v0, v12, v6
	s_delay_alu instid0(VALU_DEP_2) | instskip(NEXT) | instid1(VALU_DEP_2)
	v_fmac_f32_e32 v9, v12, v7
	v_fma_f32 v8, -v13, v7, v0
	global_store_b64 v[4:5], v[8:9], off
.LBB45_25:                              ;   in Loop: Header=BB45_12 Depth=1
	s_and_not1_b32 vcc_lo, exec_lo, s18
	s_cbranch_vccnz .LBB45_27
; %bb.26:                               ;   in Loop: Header=BB45_12 Depth=1
	v_mul_lo_u32 v0, v3, s14
	v_mul_lo_u32 v5, v2, s15
	v_mad_u64_u32 v[3:4], null, v2, s14, 0
	s_delay_alu instid0(VALU_DEP_1) | instskip(SKIP_1) | instid1(VALU_DEP_2)
	v_add3_u32 v4, v4, v5, v0
	v_mul_f32_e64 v0, v26, -v11
	v_lshlrev_b64 v[2:3], 3, v[3:4]
	s_delay_alu instid0(VALU_DEP_1) | instskip(NEXT) | instid1(VALU_DEP_2)
	v_add_co_u32 v2, vcc_lo, v20, v2
	v_add_co_ci_u32_e32 v3, vcc_lo, v21, v3, vcc_lo
	global_load_b64 v[4:5], v[2:3], off
	v_fmac_f32_e32 v0, v10, v27
	v_mul_f32_e32 v7, v26, v10
                                        ; implicit-def: $vgpr26
	s_waitcnt vmcnt(0)
	s_delay_alu instid0(VALU_DEP_1) | instskip(NEXT) | instid1(VALU_DEP_1)
	v_dual_fmac_f32 v0, v12, v4 :: v_dual_fmac_f32 v7, v11, v27
                                        ; implicit-def: $vgpr27
	v_fma_f32 v6, -v13, v5, v0
	s_delay_alu instid0(VALU_DEP_2) | instskip(NEXT) | instid1(VALU_DEP_1)
	v_fmac_f32_e32 v7, v13, v4
	v_fmac_f32_e32 v7, v12, v5
	global_store_b64 v[2:3], v[6:7], off
                                        ; implicit-def: $vgpr2
.LBB45_27:                              ;   in Loop: Header=BB45_12 Depth=1
	s_and_not1_saveexec_b32 s16, s16
	s_cbranch_execz .LBB45_11
; %bb.28:                               ;   in Loop: Header=BB45_12 Depth=1
	v_mul_f32_e64 v4, v26, -v11
	v_mul_f32_e32 v5, v26, v10
	s_and_b32 vcc_lo, exec_lo, s5
	s_mov_b32 s16, -1
	s_delay_alu instid0(VALU_DEP_2) | instskip(NEXT) | instid1(VALU_DEP_2)
	v_fmac_f32_e32 v4, v10, v27
	v_fmac_f32_e32 v5, v11, v27
	s_cbranch_vccz .LBB45_30
; %bb.29:                               ;   in Loop: Header=BB45_12 Depth=1
	v_lshlrev_b64 v[6:7], 3, v[2:3]
	s_mov_b32 s16, 0
	s_delay_alu instid0(VALU_DEP_1) | instskip(NEXT) | instid1(VALU_DEP_2)
	v_add_co_u32 v6, vcc_lo, v22, v6
	v_add_co_ci_u32_e32 v7, vcc_lo, v23, v7, vcc_lo
	global_store_b64 v[6:7], v[4:5], off
.LBB45_30:                              ;   in Loop: Header=BB45_12 Depth=1
	s_and_not1_b32 vcc_lo, exec_lo, s16
	s_cbranch_vccnz .LBB45_11
; %bb.31:                               ;   in Loop: Header=BB45_12 Depth=1
	v_mul_lo_u32 v0, v3, s14
	v_mul_lo_u32 v3, v2, s15
	v_mad_u64_u32 v[6:7], null, v2, s14, 0
	s_delay_alu instid0(VALU_DEP_1) | instskip(NEXT) | instid1(VALU_DEP_1)
	v_add3_u32 v7, v7, v3, v0
	v_lshlrev_b64 v[2:3], 3, v[6:7]
	s_delay_alu instid0(VALU_DEP_1) | instskip(NEXT) | instid1(VALU_DEP_2)
	v_add_co_u32 v2, vcc_lo, v20, v2
	v_add_co_ci_u32_e32 v3, vcc_lo, v21, v3, vcc_lo
	global_store_b64 v[2:3], v[4:5], off
	s_branch .LBB45_11
.LBB45_32:
	s_nop 0
	s_sendmsg sendmsg(MSG_DEALLOC_VGPRS)
	s_endpgm
.LBB45_33:
	v_dual_mov_b32 v1, s4 :: v_dual_mov_b32 v2, s5
	flat_load_b32 v10, v[1:2]
	v_cndmask_b32_e64 v1, 0, 1, s6
	v_mov_b32_e32 v11, s5
	s_and_not1_b32 vcc_lo, exec_lo, s6
	s_cbranch_vccnz .LBB45_2
.LBB45_34:
	v_dual_mov_b32 v2, s4 :: v_dual_mov_b32 v3, s5
	flat_load_b32 v11, v[2:3] offset:4
	v_cmp_ne_u32_e32 vcc_lo, 1, v1
	v_mov_b32_e32 v12, s2
	s_cbranch_vccnz .LBB45_3
.LBB45_35:
	v_dual_mov_b32 v2, s2 :: v_dual_mov_b32 v3, s3
	flat_load_b32 v12, v[2:3]
	v_cmp_ne_u32_e32 vcc_lo, 1, v1
	v_mov_b32_e32 v13, s3
	s_cbranch_vccz .LBB45_4
	s_branch .LBB45_5
	.section	.rodata,"a",@progbits
	.p2align	6, 0x0
	.amdhsa_kernel _ZN9rocsparseL29bsrmmnt_small_blockdim_kernelILj64ELj8ELj2Eii21rocsparse_complex_numIfES2_S2_S2_EEv20rocsparse_direction_T3_S4_llNS_24const_host_device_scalarIT7_EEPKT2_PKS4_PKT4_PKT5_llS7_PT6_ll16rocsparse_order_21rocsparse_index_base_b
		.amdhsa_group_segment_fixed_size 1792
		.amdhsa_private_segment_fixed_size 0
		.amdhsa_kernarg_size 392
		.amdhsa_user_sgpr_count 15
		.amdhsa_user_sgpr_dispatch_ptr 0
		.amdhsa_user_sgpr_queue_ptr 0
		.amdhsa_user_sgpr_kernarg_segment_ptr 1
		.amdhsa_user_sgpr_dispatch_id 0
		.amdhsa_user_sgpr_private_segment_size 0
		.amdhsa_wavefront_size32 1
		.amdhsa_uses_dynamic_stack 0
		.amdhsa_enable_private_segment 0
		.amdhsa_system_sgpr_workgroup_id_x 1
		.amdhsa_system_sgpr_workgroup_id_y 0
		.amdhsa_system_sgpr_workgroup_id_z 0
		.amdhsa_system_sgpr_workgroup_info 0
		.amdhsa_system_vgpr_workitem_id 0
		.amdhsa_next_free_vgpr 42
		.amdhsa_next_free_sgpr 24
		.amdhsa_reserve_vcc 1
		.amdhsa_float_round_mode_32 0
		.amdhsa_float_round_mode_16_64 0
		.amdhsa_float_denorm_mode_32 3
		.amdhsa_float_denorm_mode_16_64 3
		.amdhsa_dx10_clamp 1
		.amdhsa_ieee_mode 1
		.amdhsa_fp16_overflow 0
		.amdhsa_workgroup_processor_mode 1
		.amdhsa_memory_ordered 1
		.amdhsa_forward_progress 0
		.amdhsa_shared_vgpr_count 0
		.amdhsa_exception_fp_ieee_invalid_op 0
		.amdhsa_exception_fp_denorm_src 0
		.amdhsa_exception_fp_ieee_div_zero 0
		.amdhsa_exception_fp_ieee_overflow 0
		.amdhsa_exception_fp_ieee_underflow 0
		.amdhsa_exception_fp_ieee_inexact 0
		.amdhsa_exception_int_div_zero 0
	.end_amdhsa_kernel
	.section	.text._ZN9rocsparseL29bsrmmnt_small_blockdim_kernelILj64ELj8ELj2Eii21rocsparse_complex_numIfES2_S2_S2_EEv20rocsparse_direction_T3_S4_llNS_24const_host_device_scalarIT7_EEPKT2_PKS4_PKT4_PKT5_llS7_PT6_ll16rocsparse_order_21rocsparse_index_base_b,"axG",@progbits,_ZN9rocsparseL29bsrmmnt_small_blockdim_kernelILj64ELj8ELj2Eii21rocsparse_complex_numIfES2_S2_S2_EEv20rocsparse_direction_T3_S4_llNS_24const_host_device_scalarIT7_EEPKT2_PKS4_PKT4_PKT5_llS7_PT6_ll16rocsparse_order_21rocsparse_index_base_b,comdat
.Lfunc_end45:
	.size	_ZN9rocsparseL29bsrmmnt_small_blockdim_kernelILj64ELj8ELj2Eii21rocsparse_complex_numIfES2_S2_S2_EEv20rocsparse_direction_T3_S4_llNS_24const_host_device_scalarIT7_EEPKT2_PKS4_PKT4_PKT5_llS7_PT6_ll16rocsparse_order_21rocsparse_index_base_b, .Lfunc_end45-_ZN9rocsparseL29bsrmmnt_small_blockdim_kernelILj64ELj8ELj2Eii21rocsparse_complex_numIfES2_S2_S2_EEv20rocsparse_direction_T3_S4_llNS_24const_host_device_scalarIT7_EEPKT2_PKS4_PKT4_PKT5_llS7_PT6_ll16rocsparse_order_21rocsparse_index_base_b
                                        ; -- End function
	.section	.AMDGPU.csdata,"",@progbits
; Kernel info:
; codeLenInByte = 1956
; NumSgprs: 26
; NumVgprs: 42
; ScratchSize: 0
; MemoryBound: 0
; FloatMode: 240
; IeeeMode: 1
; LDSByteSize: 1792 bytes/workgroup (compile time only)
; SGPRBlocks: 3
; VGPRBlocks: 5
; NumSGPRsForWavesPerEU: 26
; NumVGPRsForWavesPerEU: 42
; Occupancy: 16
; WaveLimiterHint : 1
; COMPUTE_PGM_RSRC2:SCRATCH_EN: 0
; COMPUTE_PGM_RSRC2:USER_SGPR: 15
; COMPUTE_PGM_RSRC2:TRAP_HANDLER: 0
; COMPUTE_PGM_RSRC2:TGID_X_EN: 1
; COMPUTE_PGM_RSRC2:TGID_Y_EN: 0
; COMPUTE_PGM_RSRC2:TGID_Z_EN: 0
; COMPUTE_PGM_RSRC2:TIDIG_COMP_CNT: 0
	.section	.text._ZN9rocsparseL29bsrmmnt_small_blockdim_kernelILj64ELj16ELj2Eii21rocsparse_complex_numIfES2_S2_S2_EEv20rocsparse_direction_T3_S4_llNS_24const_host_device_scalarIT7_EEPKT2_PKS4_PKT4_PKT5_llS7_PT6_ll16rocsparse_order_21rocsparse_index_base_b,"axG",@progbits,_ZN9rocsparseL29bsrmmnt_small_blockdim_kernelILj64ELj16ELj2Eii21rocsparse_complex_numIfES2_S2_S2_EEv20rocsparse_direction_T3_S4_llNS_24const_host_device_scalarIT7_EEPKT2_PKS4_PKT4_PKT5_llS7_PT6_ll16rocsparse_order_21rocsparse_index_base_b,comdat
	.globl	_ZN9rocsparseL29bsrmmnt_small_blockdim_kernelILj64ELj16ELj2Eii21rocsparse_complex_numIfES2_S2_S2_EEv20rocsparse_direction_T3_S4_llNS_24const_host_device_scalarIT7_EEPKT2_PKS4_PKT4_PKT5_llS7_PT6_ll16rocsparse_order_21rocsparse_index_base_b ; -- Begin function _ZN9rocsparseL29bsrmmnt_small_blockdim_kernelILj64ELj16ELj2Eii21rocsparse_complex_numIfES2_S2_S2_EEv20rocsparse_direction_T3_S4_llNS_24const_host_device_scalarIT7_EEPKT2_PKS4_PKT4_PKT5_llS7_PT6_ll16rocsparse_order_21rocsparse_index_base_b
	.p2align	8
	.type	_ZN9rocsparseL29bsrmmnt_small_blockdim_kernelILj64ELj16ELj2Eii21rocsparse_complex_numIfES2_S2_S2_EEv20rocsparse_direction_T3_S4_llNS_24const_host_device_scalarIT7_EEPKT2_PKS4_PKT4_PKT5_llS7_PT6_ll16rocsparse_order_21rocsparse_index_base_b,@function
_ZN9rocsparseL29bsrmmnt_small_blockdim_kernelILj64ELj16ELj2Eii21rocsparse_complex_numIfES2_S2_S2_EEv20rocsparse_direction_T3_S4_llNS_24const_host_device_scalarIT7_EEPKT2_PKS4_PKT4_PKT5_llS7_PT6_ll16rocsparse_order_21rocsparse_index_base_b: ; @_ZN9rocsparseL29bsrmmnt_small_blockdim_kernelILj64ELj16ELj2Eii21rocsparse_complex_numIfES2_S2_S2_EEv20rocsparse_direction_T3_S4_llNS_24const_host_device_scalarIT7_EEPKT2_PKS4_PKT4_PKT5_llS7_PT6_ll16rocsparse_order_21rocsparse_index_base_b
; %bb.0:
	s_clause 0x2
	s_load_b128 s[16:19], s[0:1], 0x78
	s_load_b64 s[4:5], s[0:1], 0x20
	s_load_b64 s[2:3], s[0:1], 0x58
	s_waitcnt lgkmcnt(0)
	s_bitcmp1_b32 s18, 0
	v_mov_b32_e32 v10, s4
	s_cselect_b32 s6, -1, 0
	s_delay_alu instid0(SALU_CYCLE_1)
	s_and_b32 vcc_lo, exec_lo, s6
	s_xor_b32 s6, s6, -1
	s_cbranch_vccz .LBB46_33
; %bb.1:
	v_cndmask_b32_e64 v1, 0, 1, s6
	v_mov_b32_e32 v11, s5
	s_and_not1_b32 vcc_lo, exec_lo, s6
	s_cbranch_vccz .LBB46_34
.LBB46_2:
	s_delay_alu instid0(VALU_DEP_2)
	v_cmp_ne_u32_e32 vcc_lo, 1, v1
	v_mov_b32_e32 v12, s2
	s_cbranch_vccz .LBB46_35
.LBB46_3:
	v_cmp_ne_u32_e32 vcc_lo, 1, v1
	v_mov_b32_e32 v13, s3
	s_cbranch_vccnz .LBB46_5
.LBB46_4:
	v_dual_mov_b32 v1, s2 :: v_dual_mov_b32 v2, s3
	flat_load_b32 v13, v[1:2] offset:4
.LBB46_5:
	s_waitcnt vmcnt(0) lgkmcnt(0)
	v_cmp_eq_f32_e32 vcc_lo, 0, v10
	v_cmp_eq_f32_e64 s2, 0, v11
	s_delay_alu instid0(VALU_DEP_1)
	s_and_b32 s4, vcc_lo, s2
	s_mov_b32 s2, -1
	s_and_saveexec_b32 s3, s4
; %bb.6:
	v_cmp_neq_f32_e32 vcc_lo, 1.0, v12
	v_cmp_neq_f32_e64 s2, 0, v13
	s_delay_alu instid0(VALU_DEP_1) | instskip(NEXT) | instid1(SALU_CYCLE_1)
	s_or_b32 s2, vcc_lo, s2
	s_or_not1_b32 s2, s2, exec_lo
; %bb.7:
	s_or_b32 exec_lo, exec_lo, s3
	s_and_saveexec_b32 s3, s2
	s_cbranch_execz .LBB46_32
; %bb.8:
	s_clause 0x1
	s_load_b32 s2, s[0:1], 0x94
	s_load_b128 s[20:23], s[0:1], 0x0
	s_waitcnt lgkmcnt(0)
	s_and_b32 s2, s2, 0xffff
	s_delay_alu instid0(SALU_CYCLE_1) | instskip(NEXT) | instid1(VALU_DEP_1)
	v_mad_u64_u32 v[1:2], null, s15, s2, v[0:1]
	v_lshrrev_b32_e32 v2, 5, v1
	s_delay_alu instid0(VALU_DEP_1)
	v_cmp_gt_i32_e32 vcc_lo, s21, v2
	s_and_b32 exec_lo, exec_lo, vcc_lo
	s_cbranch_execz .LBB46_32
; %bb.9:
	s_cmp_lt_i32 s22, 1
	s_cbranch_scc1 .LBB46_32
; %bb.10:
	s_load_b256 s[4:11], s[0:1], 0x28
	v_lshlrev_b32_e32 v2, 2, v2
	s_clause 0x1
	s_load_b128 s[12:15], s[0:1], 0x60
	s_load_b64 s[2:3], s[0:1], 0x48
	v_lshrrev_b32_e32 v7, 4, v1
	v_cmp_neq_f32_e32 vcc_lo, 0, v12
	v_cmp_neq_f32_e64 s0, 0, v13
	v_and_b32_e32 v14, 15, v0
	v_lshrrev_b32_e32 v8, 4, v0
	v_bfe_u32 v1, v1, 4, 1
	s_delay_alu instid0(VALU_DEP_3) | instskip(NEXT) | instid1(VALU_DEP_3)
	v_mul_u32_u24_e32 v9, 3, v14
	v_lshl_or_b32 v15, v8, 6, 0x600
	v_mul_u32_u24_e32 v16, 0x180, v8
	s_delay_alu instid0(VALU_DEP_2)
	v_lshl_or_b32 v17, v14, 2, v15
	s_waitcnt lgkmcnt(0)
	global_load_b64 v[2:3], v2, s[4:5]
	s_or_b32 s4, vcc_lo, s0
	v_mad_u64_u32 v[4:5], null, v7, s14, 0
	s_cmp_lg_u32 s16, 1
	s_cselect_b32 s5, -1, 0
	s_cmp_eq_u32 s20, 0
	s_cselect_b32 s1, -1, 0
	s_delay_alu instid0(VALU_DEP_1) | instskip(NEXT) | instid1(VALU_DEP_1)
	v_mov_b32_e32 v0, v5
	v_mad_u64_u32 v[5:6], null, v7, s15, v[0:1]
	v_lshlrev_b32_e32 v7, 3, v7
	v_lshlrev_b32_e32 v0, 3, v9
	v_cndmask_b32_e64 v6, 0, 1, s1
	s_and_b32 s1, s1, exec_lo
	s_delay_alu instid0(VALU_DEP_3) | instskip(NEXT) | instid1(VALU_DEP_3)
	v_add_co_u32 v20, s0, s12, v7
	v_mad_u32_u24 v18, 0x180, v8, v0
	s_delay_alu instid0(VALU_DEP_3) | instskip(SKIP_2) | instid1(VALU_DEP_2)
	v_lshlrev_b32_e32 v19, v6, v1
	v_lshlrev_b64 v[0:1], 3, v[4:5]
	v_add_co_ci_u32_e64 v21, null, s13, 0, s0
	v_add_co_u32 v22, vcc_lo, s12, v0
	s_delay_alu instid0(VALU_DEP_3)
	v_add_co_ci_u32_e32 v23, vcc_lo, s13, v1, vcc_lo
	v_mov_b32_e32 v1, 0
	s_mov_b32 s12, 0
	s_cselect_b32 s13, 1, 2
	s_waitcnt vmcnt(0)
	v_subrev_nc_u32_e32 v24, s17, v2
	v_subrev_nc_u32_e32 v25, s17, v3
	v_cmp_lt_i32_e64 s0, v2, v3
	s_branch .LBB46_12
.LBB46_11:                              ;   in Loop: Header=BB46_12 Depth=1
	s_or_b32 exec_lo, exec_lo, s1
	s_add_i32 s12, s12, 16
	s_delay_alu instid0(SALU_CYCLE_1)
	s_cmp_lt_i32 s12, s22
	s_cbranch_scc0 .LBB46_32
.LBB46_12:                              ; =>This Loop Header: Depth=1
                                        ;     Child Loop BB46_15 Depth 2
                                        ;       Child Loop BB46_19 Depth 3
	v_or_b32_e32 v2, s12, v14
	v_mov_b32_e32 v26, v1
	v_mov_b32_e32 v27, v1
	s_delay_alu instid0(VALU_DEP_3)
	v_ashrrev_i32_e32 v3, 31, v2
	s_and_saveexec_b32 s16, s0
	s_cbranch_execz .LBB46_21
; %bb.13:                               ;   in Loop: Header=BB46_12 Depth=1
	s_delay_alu instid0(VALU_DEP_1) | instskip(SKIP_4) | instid1(VALU_DEP_4)
	v_lshlrev_b64 v[4:5], 3, v[2:3]
	v_cmp_gt_i32_e32 vcc_lo, s22, v2
	v_dual_mov_b32 v26, 0 :: v_dual_mov_b32 v27, 0
	v_mov_b32_e32 v30, v24
	s_mov_b32 s18, 0
	v_add_co_u32 v28, s1, s10, v4
	s_delay_alu instid0(VALU_DEP_1)
	v_add_co_ci_u32_e64 v29, s1, s11, v5, s1
	s_branch .LBB46_15
.LBB46_14:                              ;   in Loop: Header=BB46_15 Depth=2
	s_or_b32 exec_lo, exec_lo, s19
	v_add_nc_u32_e32 v30, 16, v30
	s_delay_alu instid0(VALU_DEP_1) | instskip(NEXT) | instid1(VALU_DEP_1)
	v_cmp_ge_i32_e64 s1, v30, v25
	s_or_b32 s18, s1, s18
	s_delay_alu instid0(SALU_CYCLE_1)
	s_and_not1_b32 exec_lo, exec_lo, s18
	s_cbranch_execz .LBB46_20
.LBB46_15:                              ;   Parent Loop BB46_12 Depth=1
                                        ; =>  This Loop Header: Depth=2
                                        ;       Child Loop BB46_19 Depth 3
	v_dual_mov_b32 v5, 0 :: v_dual_add_nc_u32 v8, v30, v14
	v_dual_mov_b32 v0, 0 :: v_dual_mov_b32 v7, 0
	v_mov_b32_e32 v4, 0
	v_mov_b32_e32 v6, 0
	s_mov_b32 s19, exec_lo
	v_cmpx_lt_i32_e64 v8, v25
	s_cbranch_execz .LBB46_17
; %bb.16:                               ;   in Loop: Header=BB46_15 Depth=2
	v_ashrrev_i32_e32 v9, 31, v8
	v_lshl_or_b32 v0, v8, 2, v19
	s_delay_alu instid0(VALU_DEP_2) | instskip(NEXT) | instid1(VALU_DEP_2)
	v_lshlrev_b64 v[4:5], 2, v[8:9]
	v_lshlrev_b64 v[6:7], 3, v[0:1]
	v_or_b32_e32 v0, s13, v0
	s_delay_alu instid0(VALU_DEP_3) | instskip(NEXT) | instid1(VALU_DEP_1)
	v_add_co_u32 v4, s1, s6, v4
	v_add_co_ci_u32_e64 v5, s1, s7, v5, s1
	s_delay_alu instid0(VALU_DEP_3) | instskip(SKIP_2) | instid1(VALU_DEP_1)
	v_lshlrev_b64 v[8:9], 3, v[0:1]
	global_load_b32 v0, v[4:5], off
	v_add_co_u32 v4, s1, s8, v6
	v_add_co_ci_u32_e64 v5, s1, s9, v7, s1
	v_add_co_u32 v6, s1, s8, v8
	s_delay_alu instid0(VALU_DEP_1)
	v_add_co_ci_u32_e64 v7, s1, s9, v9, s1
	s_clause 0x1
	global_load_b64 v[4:5], v[4:5], off
	global_load_b64 v[6:7], v[6:7], off
	s_waitcnt vmcnt(2)
	v_subrev_nc_u32_e32 v0, s17, v0
	s_delay_alu instid0(VALU_DEP_1)
	v_lshlrev_b32_e32 v0, 1, v0
.LBB46_17:                              ;   in Loop: Header=BB46_15 Depth=2
	s_or_b32 exec_lo, exec_lo, s19
	ds_store_b32 v17, v0
	s_waitcnt vmcnt(0)
	ds_store_2addr_b64 v18, v[4:5], v[6:7] offset1:1
	s_waitcnt lgkmcnt(0)
	s_waitcnt_vscnt null, 0x0
	s_barrier
	buffer_gl0_inv
	s_and_saveexec_b32 s19, vcc_lo
	s_cbranch_execz .LBB46_14
; %bb.18:                               ;   in Loop: Header=BB46_15 Depth=2
	v_mov_b32_e32 v0, v16
	s_mov_b32 s20, 0
.LBB46_19:                              ;   Parent Loop BB46_12 Depth=1
                                        ;     Parent Loop BB46_15 Depth=2
                                        ; =>    This Inner Loop Header: Depth=3
	s_delay_alu instid0(SALU_CYCLE_1) | instskip(SKIP_1) | instid1(SALU_CYCLE_1)
	v_add_nc_u32_e32 v4, s20, v15
	s_add_i32 s20, s20, 8
	s_cmp_lg_u32 s20, 64
	ds_load_b64 v[4:5], v4
	s_waitcnt lgkmcnt(0)
	v_ashrrev_i32_e32 v31, 31, v4
	v_mul_lo_u32 v33, v4, s3
	v_mad_u64_u32 v[6:7], null, v4, s2, 0
	v_add_nc_u32_e32 v32, 1, v4
	s_delay_alu instid0(VALU_DEP_4)
	v_mul_lo_u32 v37, v31, s2
	v_add_nc_u32_e32 v36, 1, v5
	v_ashrrev_i32_e32 v34, 31, v5
	v_mul_lo_u32 v35, v5, s3
	v_ashrrev_i32_e32 v38, 31, v32
	v_mad_u64_u32 v[8:9], null, v5, s2, 0
	v_mul_lo_u32 v39, v32, s3
	v_add3_u32 v7, v7, v33, v37
	v_mad_u64_u32 v[4:5], null, v32, s2, 0
	v_ashrrev_i32_e32 v40, 31, v36
	v_mul_lo_u32 v41, v36, s3
	v_mad_u64_u32 v[31:32], null, v36, s2, 0
	v_mul_lo_u32 v36, v38, s2
	v_lshlrev_b64 v[6:7], 3, v[6:7]
	v_mul_lo_u32 v34, v34, s2
	v_mul_lo_u32 v38, v40, s2
	s_delay_alu instid0(VALU_DEP_3) | instskip(SKIP_4) | instid1(VALU_DEP_4)
	v_add_co_u32 v6, s1, v28, v6
	v_add3_u32 v5, v5, v39, v36
	v_add_co_ci_u32_e64 v7, s1, v29, v7, s1
	v_add3_u32 v9, v9, v35, v34
	v_add3_u32 v32, v32, v41, v38
	v_lshlrev_b64 v[4:5], 3, v[4:5]
	global_load_b64 v[35:36], v[6:7], off
	v_lshlrev_b64 v[6:7], 3, v[8:9]
	v_add_co_u32 v4, s1, v28, v4
	s_delay_alu instid0(VALU_DEP_1) | instskip(SKIP_2) | instid1(VALU_DEP_1)
	v_add_co_ci_u32_e64 v5, s1, v29, v5, s1
	global_load_b64 v[8:9], v[4:5], off
	v_add_co_u32 v4, s1, v28, v6
	v_add_co_ci_u32_e64 v5, s1, v29, v7, s1
	v_lshlrev_b64 v[6:7], 3, v[31:32]
	global_load_b64 v[37:38], v[4:5], off
	v_add_co_u32 v4, s1, v28, v6
	s_delay_alu instid0(VALU_DEP_1)
	v_add_co_ci_u32_e64 v5, s1, v29, v7, s1
	global_load_b64 v[39:40], v[4:5], off
	ds_load_b128 v[4:7], v0
	ds_load_2addr_b64 v[31:34], v0 offset0:3 offset1:4
	s_waitcnt vmcnt(3) lgkmcnt(1)
	v_dual_fmac_f32 v27, v4, v35 :: v_dual_add_nc_u32 v0, 48, v0
	v_fmac_f32_e32 v26, v5, v35
	s_delay_alu instid0(VALU_DEP_2) | instskip(NEXT) | instid1(VALU_DEP_2)
	v_fma_f32 v5, -v5, v36, v27
	v_fmac_f32_e32 v26, v4, v36
	s_waitcnt vmcnt(2)
	s_delay_alu instid0(VALU_DEP_2) | instskip(NEXT) | instid1(VALU_DEP_2)
	v_fmac_f32_e32 v5, v6, v8
	v_fmac_f32_e32 v26, v7, v8
	s_delay_alu instid0(VALU_DEP_2) | instskip(NEXT) | instid1(VALU_DEP_2)
	v_fma_f32 v4, -v7, v9, v5
	v_fmac_f32_e32 v26, v6, v9
	s_waitcnt vmcnt(1) lgkmcnt(0)
	s_delay_alu instid0(VALU_DEP_2) | instskip(NEXT) | instid1(VALU_DEP_2)
	v_fmac_f32_e32 v4, v31, v37
	v_fmac_f32_e32 v26, v32, v37
	s_delay_alu instid0(VALU_DEP_2) | instskip(NEXT) | instid1(VALU_DEP_2)
	v_fma_f32 v4, -v32, v38, v4
	v_fmac_f32_e32 v26, v31, v38
	s_waitcnt vmcnt(0)
	s_delay_alu instid0(VALU_DEP_2) | instskip(NEXT) | instid1(VALU_DEP_2)
	v_fmac_f32_e32 v4, v33, v39
	v_fmac_f32_e32 v26, v34, v39
	s_delay_alu instid0(VALU_DEP_2) | instskip(NEXT) | instid1(VALU_DEP_2)
	v_fma_f32 v27, -v34, v40, v4
	v_fmac_f32_e32 v26, v33, v40
	s_cbranch_scc1 .LBB46_19
	s_branch .LBB46_14
.LBB46_20:                              ;   in Loop: Header=BB46_12 Depth=1
	s_or_b32 exec_lo, exec_lo, s18
.LBB46_21:                              ;   in Loop: Header=BB46_12 Depth=1
	s_delay_alu instid0(SALU_CYCLE_1) | instskip(NEXT) | instid1(SALU_CYCLE_1)
	s_or_b32 exec_lo, exec_lo, s16
	s_mov_b32 s1, exec_lo
	v_cmpx_gt_i32_e64 s22, v2
	s_cbranch_execz .LBB46_11
; %bb.22:                               ;   in Loop: Header=BB46_12 Depth=1
	s_and_saveexec_b32 s16, s4
	s_delay_alu instid0(SALU_CYCLE_1)
	s_xor_b32 s16, exec_lo, s16
	s_cbranch_execz .LBB46_27
; %bb.23:                               ;   in Loop: Header=BB46_12 Depth=1
	s_and_b32 vcc_lo, exec_lo, s5
	s_mov_b32 s18, -1
	s_cbranch_vccz .LBB46_25
; %bb.24:                               ;   in Loop: Header=BB46_12 Depth=1
	v_lshlrev_b64 v[4:5], 3, v[2:3]
	v_mul_f32_e64 v0, v26, -v11
	v_mul_f32_e32 v9, v26, v10
	s_mov_b32 s18, 0
	s_delay_alu instid0(VALU_DEP_3) | instskip(NEXT) | instid1(VALU_DEP_4)
	v_add_co_u32 v4, vcc_lo, v22, v4
	v_add_co_ci_u32_e32 v5, vcc_lo, v23, v5, vcc_lo
	global_load_b64 v[6:7], v[4:5], off
	v_fmac_f32_e32 v9, v11, v27
	s_waitcnt vmcnt(0)
	s_delay_alu instid0(VALU_DEP_1) | instskip(NEXT) | instid1(VALU_DEP_1)
	v_dual_fmac_f32 v0, v10, v27 :: v_dual_fmac_f32 v9, v13, v6
	v_fmac_f32_e32 v0, v12, v6
	s_delay_alu instid0(VALU_DEP_2) | instskip(NEXT) | instid1(VALU_DEP_2)
	v_fmac_f32_e32 v9, v12, v7
	v_fma_f32 v8, -v13, v7, v0
	global_store_b64 v[4:5], v[8:9], off
.LBB46_25:                              ;   in Loop: Header=BB46_12 Depth=1
	s_and_not1_b32 vcc_lo, exec_lo, s18
	s_cbranch_vccnz .LBB46_27
; %bb.26:                               ;   in Loop: Header=BB46_12 Depth=1
	v_mul_lo_u32 v0, v3, s14
	v_mul_lo_u32 v5, v2, s15
	v_mad_u64_u32 v[3:4], null, v2, s14, 0
	s_delay_alu instid0(VALU_DEP_1) | instskip(SKIP_1) | instid1(VALU_DEP_2)
	v_add3_u32 v4, v4, v5, v0
	v_mul_f32_e64 v0, v26, -v11
	v_lshlrev_b64 v[2:3], 3, v[3:4]
	s_delay_alu instid0(VALU_DEP_1) | instskip(NEXT) | instid1(VALU_DEP_2)
	v_add_co_u32 v2, vcc_lo, v20, v2
	v_add_co_ci_u32_e32 v3, vcc_lo, v21, v3, vcc_lo
	global_load_b64 v[4:5], v[2:3], off
	v_fmac_f32_e32 v0, v10, v27
	v_mul_f32_e32 v7, v26, v10
                                        ; implicit-def: $vgpr26
	s_waitcnt vmcnt(0)
	s_delay_alu instid0(VALU_DEP_1) | instskip(NEXT) | instid1(VALU_DEP_1)
	v_dual_fmac_f32 v0, v12, v4 :: v_dual_fmac_f32 v7, v11, v27
                                        ; implicit-def: $vgpr27
	v_fma_f32 v6, -v13, v5, v0
	s_delay_alu instid0(VALU_DEP_2) | instskip(NEXT) | instid1(VALU_DEP_1)
	v_fmac_f32_e32 v7, v13, v4
	v_fmac_f32_e32 v7, v12, v5
	global_store_b64 v[2:3], v[6:7], off
                                        ; implicit-def: $vgpr2
.LBB46_27:                              ;   in Loop: Header=BB46_12 Depth=1
	s_and_not1_saveexec_b32 s16, s16
	s_cbranch_execz .LBB46_11
; %bb.28:                               ;   in Loop: Header=BB46_12 Depth=1
	v_mul_f32_e64 v4, v26, -v11
	v_mul_f32_e32 v5, v26, v10
	s_and_b32 vcc_lo, exec_lo, s5
	s_mov_b32 s16, -1
	s_delay_alu instid0(VALU_DEP_2) | instskip(NEXT) | instid1(VALU_DEP_2)
	v_fmac_f32_e32 v4, v10, v27
	v_fmac_f32_e32 v5, v11, v27
	s_cbranch_vccz .LBB46_30
; %bb.29:                               ;   in Loop: Header=BB46_12 Depth=1
	v_lshlrev_b64 v[6:7], 3, v[2:3]
	s_mov_b32 s16, 0
	s_delay_alu instid0(VALU_DEP_1) | instskip(NEXT) | instid1(VALU_DEP_2)
	v_add_co_u32 v6, vcc_lo, v22, v6
	v_add_co_ci_u32_e32 v7, vcc_lo, v23, v7, vcc_lo
	global_store_b64 v[6:7], v[4:5], off
.LBB46_30:                              ;   in Loop: Header=BB46_12 Depth=1
	s_and_not1_b32 vcc_lo, exec_lo, s16
	s_cbranch_vccnz .LBB46_11
; %bb.31:                               ;   in Loop: Header=BB46_12 Depth=1
	v_mul_lo_u32 v0, v3, s14
	v_mul_lo_u32 v3, v2, s15
	v_mad_u64_u32 v[6:7], null, v2, s14, 0
	s_delay_alu instid0(VALU_DEP_1) | instskip(NEXT) | instid1(VALU_DEP_1)
	v_add3_u32 v7, v7, v3, v0
	v_lshlrev_b64 v[2:3], 3, v[6:7]
	s_delay_alu instid0(VALU_DEP_1) | instskip(NEXT) | instid1(VALU_DEP_2)
	v_add_co_u32 v2, vcc_lo, v20, v2
	v_add_co_ci_u32_e32 v3, vcc_lo, v21, v3, vcc_lo
	global_store_b64 v[2:3], v[4:5], off
	s_branch .LBB46_11
.LBB46_32:
	s_nop 0
	s_sendmsg sendmsg(MSG_DEALLOC_VGPRS)
	s_endpgm
.LBB46_33:
	v_dual_mov_b32 v1, s4 :: v_dual_mov_b32 v2, s5
	flat_load_b32 v10, v[1:2]
	v_cndmask_b32_e64 v1, 0, 1, s6
	v_mov_b32_e32 v11, s5
	s_and_not1_b32 vcc_lo, exec_lo, s6
	s_cbranch_vccnz .LBB46_2
.LBB46_34:
	v_dual_mov_b32 v2, s4 :: v_dual_mov_b32 v3, s5
	flat_load_b32 v11, v[2:3] offset:4
	v_cmp_ne_u32_e32 vcc_lo, 1, v1
	v_mov_b32_e32 v12, s2
	s_cbranch_vccnz .LBB46_3
.LBB46_35:
	v_dual_mov_b32 v2, s2 :: v_dual_mov_b32 v3, s3
	flat_load_b32 v12, v[2:3]
	v_cmp_ne_u32_e32 vcc_lo, 1, v1
	v_mov_b32_e32 v13, s3
	s_cbranch_vccz .LBB46_4
	s_branch .LBB46_5
	.section	.rodata,"a",@progbits
	.p2align	6, 0x0
	.amdhsa_kernel _ZN9rocsparseL29bsrmmnt_small_blockdim_kernelILj64ELj16ELj2Eii21rocsparse_complex_numIfES2_S2_S2_EEv20rocsparse_direction_T3_S4_llNS_24const_host_device_scalarIT7_EEPKT2_PKS4_PKT4_PKT5_llS7_PT6_ll16rocsparse_order_21rocsparse_index_base_b
		.amdhsa_group_segment_fixed_size 1792
		.amdhsa_private_segment_fixed_size 0
		.amdhsa_kernarg_size 392
		.amdhsa_user_sgpr_count 15
		.amdhsa_user_sgpr_dispatch_ptr 0
		.amdhsa_user_sgpr_queue_ptr 0
		.amdhsa_user_sgpr_kernarg_segment_ptr 1
		.amdhsa_user_sgpr_dispatch_id 0
		.amdhsa_user_sgpr_private_segment_size 0
		.amdhsa_wavefront_size32 1
		.amdhsa_uses_dynamic_stack 0
		.amdhsa_enable_private_segment 0
		.amdhsa_system_sgpr_workgroup_id_x 1
		.amdhsa_system_sgpr_workgroup_id_y 0
		.amdhsa_system_sgpr_workgroup_id_z 0
		.amdhsa_system_sgpr_workgroup_info 0
		.amdhsa_system_vgpr_workitem_id 0
		.amdhsa_next_free_vgpr 42
		.amdhsa_next_free_sgpr 24
		.amdhsa_reserve_vcc 1
		.amdhsa_float_round_mode_32 0
		.amdhsa_float_round_mode_16_64 0
		.amdhsa_float_denorm_mode_32 3
		.amdhsa_float_denorm_mode_16_64 3
		.amdhsa_dx10_clamp 1
		.amdhsa_ieee_mode 1
		.amdhsa_fp16_overflow 0
		.amdhsa_workgroup_processor_mode 1
		.amdhsa_memory_ordered 1
		.amdhsa_forward_progress 0
		.amdhsa_shared_vgpr_count 0
		.amdhsa_exception_fp_ieee_invalid_op 0
		.amdhsa_exception_fp_denorm_src 0
		.amdhsa_exception_fp_ieee_div_zero 0
		.amdhsa_exception_fp_ieee_overflow 0
		.amdhsa_exception_fp_ieee_underflow 0
		.amdhsa_exception_fp_ieee_inexact 0
		.amdhsa_exception_int_div_zero 0
	.end_amdhsa_kernel
	.section	.text._ZN9rocsparseL29bsrmmnt_small_blockdim_kernelILj64ELj16ELj2Eii21rocsparse_complex_numIfES2_S2_S2_EEv20rocsparse_direction_T3_S4_llNS_24const_host_device_scalarIT7_EEPKT2_PKS4_PKT4_PKT5_llS7_PT6_ll16rocsparse_order_21rocsparse_index_base_b,"axG",@progbits,_ZN9rocsparseL29bsrmmnt_small_blockdim_kernelILj64ELj16ELj2Eii21rocsparse_complex_numIfES2_S2_S2_EEv20rocsparse_direction_T3_S4_llNS_24const_host_device_scalarIT7_EEPKT2_PKS4_PKT4_PKT5_llS7_PT6_ll16rocsparse_order_21rocsparse_index_base_b,comdat
.Lfunc_end46:
	.size	_ZN9rocsparseL29bsrmmnt_small_blockdim_kernelILj64ELj16ELj2Eii21rocsparse_complex_numIfES2_S2_S2_EEv20rocsparse_direction_T3_S4_llNS_24const_host_device_scalarIT7_EEPKT2_PKS4_PKT4_PKT5_llS7_PT6_ll16rocsparse_order_21rocsparse_index_base_b, .Lfunc_end46-_ZN9rocsparseL29bsrmmnt_small_blockdim_kernelILj64ELj16ELj2Eii21rocsparse_complex_numIfES2_S2_S2_EEv20rocsparse_direction_T3_S4_llNS_24const_host_device_scalarIT7_EEPKT2_PKS4_PKT4_PKT5_llS7_PT6_ll16rocsparse_order_21rocsparse_index_base_b
                                        ; -- End function
	.section	.AMDGPU.csdata,"",@progbits
; Kernel info:
; codeLenInByte = 1964
; NumSgprs: 26
; NumVgprs: 42
; ScratchSize: 0
; MemoryBound: 0
; FloatMode: 240
; IeeeMode: 1
; LDSByteSize: 1792 bytes/workgroup (compile time only)
; SGPRBlocks: 3
; VGPRBlocks: 5
; NumSGPRsForWavesPerEU: 26
; NumVGPRsForWavesPerEU: 42
; Occupancy: 16
; WaveLimiterHint : 1
; COMPUTE_PGM_RSRC2:SCRATCH_EN: 0
; COMPUTE_PGM_RSRC2:USER_SGPR: 15
; COMPUTE_PGM_RSRC2:TRAP_HANDLER: 0
; COMPUTE_PGM_RSRC2:TGID_X_EN: 1
; COMPUTE_PGM_RSRC2:TGID_Y_EN: 0
; COMPUTE_PGM_RSRC2:TGID_Z_EN: 0
; COMPUTE_PGM_RSRC2:TIDIG_COMP_CNT: 0
	.section	.text._ZN9rocsparseL29bsrmmnt_small_blockdim_kernelILj64ELj32ELj2Eii21rocsparse_complex_numIfES2_S2_S2_EEv20rocsparse_direction_T3_S4_llNS_24const_host_device_scalarIT7_EEPKT2_PKS4_PKT4_PKT5_llS7_PT6_ll16rocsparse_order_21rocsparse_index_base_b,"axG",@progbits,_ZN9rocsparseL29bsrmmnt_small_blockdim_kernelILj64ELj32ELj2Eii21rocsparse_complex_numIfES2_S2_S2_EEv20rocsparse_direction_T3_S4_llNS_24const_host_device_scalarIT7_EEPKT2_PKS4_PKT4_PKT5_llS7_PT6_ll16rocsparse_order_21rocsparse_index_base_b,comdat
	.globl	_ZN9rocsparseL29bsrmmnt_small_blockdim_kernelILj64ELj32ELj2Eii21rocsparse_complex_numIfES2_S2_S2_EEv20rocsparse_direction_T3_S4_llNS_24const_host_device_scalarIT7_EEPKT2_PKS4_PKT4_PKT5_llS7_PT6_ll16rocsparse_order_21rocsparse_index_base_b ; -- Begin function _ZN9rocsparseL29bsrmmnt_small_blockdim_kernelILj64ELj32ELj2Eii21rocsparse_complex_numIfES2_S2_S2_EEv20rocsparse_direction_T3_S4_llNS_24const_host_device_scalarIT7_EEPKT2_PKS4_PKT4_PKT5_llS7_PT6_ll16rocsparse_order_21rocsparse_index_base_b
	.p2align	8
	.type	_ZN9rocsparseL29bsrmmnt_small_blockdim_kernelILj64ELj32ELj2Eii21rocsparse_complex_numIfES2_S2_S2_EEv20rocsparse_direction_T3_S4_llNS_24const_host_device_scalarIT7_EEPKT2_PKS4_PKT4_PKT5_llS7_PT6_ll16rocsparse_order_21rocsparse_index_base_b,@function
_ZN9rocsparseL29bsrmmnt_small_blockdim_kernelILj64ELj32ELj2Eii21rocsparse_complex_numIfES2_S2_S2_EEv20rocsparse_direction_T3_S4_llNS_24const_host_device_scalarIT7_EEPKT2_PKS4_PKT4_PKT5_llS7_PT6_ll16rocsparse_order_21rocsparse_index_base_b: ; @_ZN9rocsparseL29bsrmmnt_small_blockdim_kernelILj64ELj32ELj2Eii21rocsparse_complex_numIfES2_S2_S2_EEv20rocsparse_direction_T3_S4_llNS_24const_host_device_scalarIT7_EEPKT2_PKS4_PKT4_PKT5_llS7_PT6_ll16rocsparse_order_21rocsparse_index_base_b
; %bb.0:
	s_clause 0x2
	s_load_b128 s[16:19], s[0:1], 0x78
	s_load_b64 s[4:5], s[0:1], 0x20
	s_load_b64 s[2:3], s[0:1], 0x58
	s_waitcnt lgkmcnt(0)
	s_bitcmp1_b32 s18, 0
	v_mov_b32_e32 v10, s4
	s_cselect_b32 s6, -1, 0
	s_delay_alu instid0(SALU_CYCLE_1)
	s_and_b32 vcc_lo, exec_lo, s6
	s_xor_b32 s6, s6, -1
	s_cbranch_vccz .LBB47_33
; %bb.1:
	v_cndmask_b32_e64 v1, 0, 1, s6
	v_mov_b32_e32 v11, s5
	s_and_not1_b32 vcc_lo, exec_lo, s6
	s_cbranch_vccz .LBB47_34
.LBB47_2:
	s_delay_alu instid0(VALU_DEP_2)
	v_cmp_ne_u32_e32 vcc_lo, 1, v1
	v_mov_b32_e32 v12, s2
	s_cbranch_vccz .LBB47_35
.LBB47_3:
	v_cmp_ne_u32_e32 vcc_lo, 1, v1
	v_mov_b32_e32 v13, s3
	s_cbranch_vccnz .LBB47_5
.LBB47_4:
	v_dual_mov_b32 v1, s2 :: v_dual_mov_b32 v2, s3
	flat_load_b32 v13, v[1:2] offset:4
.LBB47_5:
	s_waitcnt vmcnt(0) lgkmcnt(0)
	v_cmp_eq_f32_e32 vcc_lo, 0, v10
	v_cmp_eq_f32_e64 s2, 0, v11
	s_delay_alu instid0(VALU_DEP_1)
	s_and_b32 s4, vcc_lo, s2
	s_mov_b32 s2, -1
	s_and_saveexec_b32 s3, s4
; %bb.6:
	v_cmp_neq_f32_e32 vcc_lo, 1.0, v12
	v_cmp_neq_f32_e64 s2, 0, v13
	s_delay_alu instid0(VALU_DEP_1) | instskip(NEXT) | instid1(SALU_CYCLE_1)
	s_or_b32 s2, vcc_lo, s2
	s_or_not1_b32 s2, s2, exec_lo
; %bb.7:
	s_or_b32 exec_lo, exec_lo, s3
	s_and_saveexec_b32 s3, s2
	s_cbranch_execz .LBB47_32
; %bb.8:
	s_clause 0x1
	s_load_b32 s2, s[0:1], 0x94
	s_load_b128 s[20:23], s[0:1], 0x0
	s_waitcnt lgkmcnt(0)
	s_and_b32 s2, s2, 0xffff
	s_delay_alu instid0(SALU_CYCLE_1) | instskip(NEXT) | instid1(VALU_DEP_1)
	v_mad_u64_u32 v[1:2], null, s15, s2, v[0:1]
	v_lshrrev_b32_e32 v2, 6, v1
	s_delay_alu instid0(VALU_DEP_1)
	v_cmp_gt_i32_e32 vcc_lo, s21, v2
	s_and_b32 exec_lo, exec_lo, vcc_lo
	s_cbranch_execz .LBB47_32
; %bb.9:
	s_cmp_lt_i32 s22, 1
	s_cbranch_scc1 .LBB47_32
; %bb.10:
	s_load_b256 s[4:11], s[0:1], 0x28
	v_lshlrev_b32_e32 v2, 2, v2
	s_clause 0x1
	s_load_b128 s[12:15], s[0:1], 0x60
	s_load_b64 s[2:3], s[0:1], 0x48
	v_lshrrev_b32_e32 v7, 5, v1
	v_cmp_neq_f32_e32 vcc_lo, 0, v12
	v_cmp_neq_f32_e64 s0, 0, v13
	v_and_b32_e32 v14, 31, v0
	v_lshrrev_b32_e32 v8, 5, v0
	v_bfe_u32 v1, v1, 5, 1
	s_delay_alu instid0(VALU_DEP_3) | instskip(NEXT) | instid1(VALU_DEP_3)
	v_mul_u32_u24_e32 v9, 3, v14
	v_lshl_or_b32 v15, v8, 7, 0x600
	v_mul_u32_u24_e32 v16, 0x300, v8
	s_delay_alu instid0(VALU_DEP_2)
	v_lshl_or_b32 v17, v14, 2, v15
	s_waitcnt lgkmcnt(0)
	global_load_b64 v[2:3], v2, s[4:5]
	s_or_b32 s4, vcc_lo, s0
	v_mad_u64_u32 v[4:5], null, v7, s14, 0
	s_cmp_lg_u32 s16, 1
	s_cselect_b32 s5, -1, 0
	s_cmp_eq_u32 s20, 0
	s_cselect_b32 s1, -1, 0
	s_delay_alu instid0(VALU_DEP_1) | instskip(NEXT) | instid1(VALU_DEP_1)
	v_mov_b32_e32 v0, v5
	v_mad_u64_u32 v[5:6], null, v7, s15, v[0:1]
	v_lshlrev_b32_e32 v7, 3, v7
	v_lshlrev_b32_e32 v0, 3, v9
	v_cndmask_b32_e64 v6, 0, 1, s1
	s_and_b32 s1, s1, exec_lo
	s_delay_alu instid0(VALU_DEP_3) | instskip(NEXT) | instid1(VALU_DEP_3)
	v_add_co_u32 v20, s0, s12, v7
	v_mad_u32_u24 v18, 0x300, v8, v0
	s_delay_alu instid0(VALU_DEP_3) | instskip(SKIP_2) | instid1(VALU_DEP_2)
	v_lshlrev_b32_e32 v19, v6, v1
	v_lshlrev_b64 v[0:1], 3, v[4:5]
	v_add_co_ci_u32_e64 v21, null, s13, 0, s0
	v_add_co_u32 v22, vcc_lo, s12, v0
	s_delay_alu instid0(VALU_DEP_3)
	v_add_co_ci_u32_e32 v23, vcc_lo, s13, v1, vcc_lo
	v_mov_b32_e32 v1, 0
	s_mov_b32 s12, 0
	s_cselect_b32 s13, 1, 2
	s_waitcnt vmcnt(0)
	v_subrev_nc_u32_e32 v24, s17, v2
	v_subrev_nc_u32_e32 v25, s17, v3
	v_cmp_lt_i32_e64 s0, v2, v3
	s_branch .LBB47_12
.LBB47_11:                              ;   in Loop: Header=BB47_12 Depth=1
	s_or_b32 exec_lo, exec_lo, s1
	s_add_i32 s12, s12, 32
	s_delay_alu instid0(SALU_CYCLE_1)
	s_cmp_lt_i32 s12, s22
	s_cbranch_scc0 .LBB47_32
.LBB47_12:                              ; =>This Loop Header: Depth=1
                                        ;     Child Loop BB47_15 Depth 2
                                        ;       Child Loop BB47_19 Depth 3
	v_or_b32_e32 v2, s12, v14
	v_mov_b32_e32 v26, v1
	v_mov_b32_e32 v27, v1
	s_delay_alu instid0(VALU_DEP_3)
	v_ashrrev_i32_e32 v3, 31, v2
	s_and_saveexec_b32 s16, s0
	s_cbranch_execz .LBB47_21
; %bb.13:                               ;   in Loop: Header=BB47_12 Depth=1
	s_delay_alu instid0(VALU_DEP_1) | instskip(SKIP_4) | instid1(VALU_DEP_4)
	v_lshlrev_b64 v[4:5], 3, v[2:3]
	v_cmp_gt_i32_e32 vcc_lo, s22, v2
	v_dual_mov_b32 v26, 0 :: v_dual_mov_b32 v27, 0
	v_mov_b32_e32 v30, v24
	s_mov_b32 s18, 0
	v_add_co_u32 v28, s1, s10, v4
	s_delay_alu instid0(VALU_DEP_1)
	v_add_co_ci_u32_e64 v29, s1, s11, v5, s1
	s_branch .LBB47_15
.LBB47_14:                              ;   in Loop: Header=BB47_15 Depth=2
	s_or_b32 exec_lo, exec_lo, s19
	v_add_nc_u32_e32 v30, 32, v30
	s_delay_alu instid0(VALU_DEP_1) | instskip(NEXT) | instid1(VALU_DEP_1)
	v_cmp_ge_i32_e64 s1, v30, v25
	s_or_b32 s18, s1, s18
	s_delay_alu instid0(SALU_CYCLE_1)
	s_and_not1_b32 exec_lo, exec_lo, s18
	s_cbranch_execz .LBB47_20
.LBB47_15:                              ;   Parent Loop BB47_12 Depth=1
                                        ; =>  This Loop Header: Depth=2
                                        ;       Child Loop BB47_19 Depth 3
	v_dual_mov_b32 v5, 0 :: v_dual_add_nc_u32 v8, v30, v14
	v_dual_mov_b32 v0, 0 :: v_dual_mov_b32 v7, 0
	v_mov_b32_e32 v4, 0
	v_mov_b32_e32 v6, 0
	s_mov_b32 s19, exec_lo
	v_cmpx_lt_i32_e64 v8, v25
	s_cbranch_execz .LBB47_17
; %bb.16:                               ;   in Loop: Header=BB47_15 Depth=2
	v_ashrrev_i32_e32 v9, 31, v8
	v_lshl_or_b32 v0, v8, 2, v19
	s_delay_alu instid0(VALU_DEP_2) | instskip(NEXT) | instid1(VALU_DEP_2)
	v_lshlrev_b64 v[4:5], 2, v[8:9]
	v_lshlrev_b64 v[6:7], 3, v[0:1]
	v_or_b32_e32 v0, s13, v0
	s_delay_alu instid0(VALU_DEP_3) | instskip(NEXT) | instid1(VALU_DEP_1)
	v_add_co_u32 v4, s1, s6, v4
	v_add_co_ci_u32_e64 v5, s1, s7, v5, s1
	s_delay_alu instid0(VALU_DEP_3) | instskip(SKIP_2) | instid1(VALU_DEP_1)
	v_lshlrev_b64 v[8:9], 3, v[0:1]
	global_load_b32 v0, v[4:5], off
	v_add_co_u32 v4, s1, s8, v6
	v_add_co_ci_u32_e64 v5, s1, s9, v7, s1
	v_add_co_u32 v6, s1, s8, v8
	s_delay_alu instid0(VALU_DEP_1)
	v_add_co_ci_u32_e64 v7, s1, s9, v9, s1
	s_clause 0x1
	global_load_b64 v[4:5], v[4:5], off
	global_load_b64 v[6:7], v[6:7], off
	s_waitcnt vmcnt(2)
	v_subrev_nc_u32_e32 v0, s17, v0
	s_delay_alu instid0(VALU_DEP_1)
	v_lshlrev_b32_e32 v0, 1, v0
.LBB47_17:                              ;   in Loop: Header=BB47_15 Depth=2
	s_or_b32 exec_lo, exec_lo, s19
	ds_store_b32 v17, v0
	s_waitcnt vmcnt(0)
	ds_store_2addr_b64 v18, v[4:5], v[6:7] offset1:1
	s_waitcnt lgkmcnt(0)
	s_waitcnt_vscnt null, 0x0
	s_barrier
	buffer_gl0_inv
	s_and_saveexec_b32 s19, vcc_lo
	s_cbranch_execz .LBB47_14
; %bb.18:                               ;   in Loop: Header=BB47_15 Depth=2
	v_mov_b32_e32 v0, v16
	s_mov_b32 s20, 0
.LBB47_19:                              ;   Parent Loop BB47_12 Depth=1
                                        ;     Parent Loop BB47_15 Depth=2
                                        ; =>    This Inner Loop Header: Depth=3
	s_delay_alu instid0(SALU_CYCLE_1) | instskip(SKIP_1) | instid1(SALU_CYCLE_1)
	v_add_nc_u32_e32 v4, s20, v15
	s_add_i32 s20, s20, 8
	s_cmpk_lg_i32 s20, 0x80
	ds_load_b64 v[4:5], v4
	s_waitcnt lgkmcnt(0)
	v_ashrrev_i32_e32 v31, 31, v4
	v_mul_lo_u32 v33, v4, s3
	v_mad_u64_u32 v[6:7], null, v4, s2, 0
	v_add_nc_u32_e32 v32, 1, v4
	s_delay_alu instid0(VALU_DEP_4)
	v_mul_lo_u32 v37, v31, s2
	v_add_nc_u32_e32 v36, 1, v5
	v_ashrrev_i32_e32 v34, 31, v5
	v_mul_lo_u32 v35, v5, s3
	v_ashrrev_i32_e32 v38, 31, v32
	v_mad_u64_u32 v[8:9], null, v5, s2, 0
	v_mul_lo_u32 v39, v32, s3
	v_add3_u32 v7, v7, v33, v37
	v_mad_u64_u32 v[4:5], null, v32, s2, 0
	v_ashrrev_i32_e32 v40, 31, v36
	v_mul_lo_u32 v41, v36, s3
	v_mad_u64_u32 v[31:32], null, v36, s2, 0
	v_mul_lo_u32 v36, v38, s2
	v_lshlrev_b64 v[6:7], 3, v[6:7]
	v_mul_lo_u32 v34, v34, s2
	v_mul_lo_u32 v38, v40, s2
	s_delay_alu instid0(VALU_DEP_3) | instskip(SKIP_4) | instid1(VALU_DEP_4)
	v_add_co_u32 v6, s1, v28, v6
	v_add3_u32 v5, v5, v39, v36
	v_add_co_ci_u32_e64 v7, s1, v29, v7, s1
	v_add3_u32 v9, v9, v35, v34
	v_add3_u32 v32, v32, v41, v38
	v_lshlrev_b64 v[4:5], 3, v[4:5]
	global_load_b64 v[35:36], v[6:7], off
	v_lshlrev_b64 v[6:7], 3, v[8:9]
	v_add_co_u32 v4, s1, v28, v4
	s_delay_alu instid0(VALU_DEP_1) | instskip(SKIP_2) | instid1(VALU_DEP_1)
	v_add_co_ci_u32_e64 v5, s1, v29, v5, s1
	global_load_b64 v[8:9], v[4:5], off
	v_add_co_u32 v4, s1, v28, v6
	v_add_co_ci_u32_e64 v5, s1, v29, v7, s1
	v_lshlrev_b64 v[6:7], 3, v[31:32]
	global_load_b64 v[37:38], v[4:5], off
	v_add_co_u32 v4, s1, v28, v6
	s_delay_alu instid0(VALU_DEP_1)
	v_add_co_ci_u32_e64 v5, s1, v29, v7, s1
	global_load_b64 v[39:40], v[4:5], off
	ds_load_b128 v[4:7], v0
	ds_load_2addr_b64 v[31:34], v0 offset0:3 offset1:4
	s_waitcnt vmcnt(3) lgkmcnt(1)
	v_dual_fmac_f32 v27, v4, v35 :: v_dual_add_nc_u32 v0, 48, v0
	v_fmac_f32_e32 v26, v5, v35
	s_delay_alu instid0(VALU_DEP_2) | instskip(NEXT) | instid1(VALU_DEP_2)
	v_fma_f32 v5, -v5, v36, v27
	v_fmac_f32_e32 v26, v4, v36
	s_waitcnt vmcnt(2)
	s_delay_alu instid0(VALU_DEP_2) | instskip(NEXT) | instid1(VALU_DEP_2)
	v_fmac_f32_e32 v5, v6, v8
	v_fmac_f32_e32 v26, v7, v8
	s_delay_alu instid0(VALU_DEP_2) | instskip(NEXT) | instid1(VALU_DEP_2)
	v_fma_f32 v4, -v7, v9, v5
	v_fmac_f32_e32 v26, v6, v9
	s_waitcnt vmcnt(1) lgkmcnt(0)
	s_delay_alu instid0(VALU_DEP_2) | instskip(NEXT) | instid1(VALU_DEP_2)
	v_fmac_f32_e32 v4, v31, v37
	v_fmac_f32_e32 v26, v32, v37
	s_delay_alu instid0(VALU_DEP_2) | instskip(NEXT) | instid1(VALU_DEP_2)
	v_fma_f32 v4, -v32, v38, v4
	v_fmac_f32_e32 v26, v31, v38
	s_waitcnt vmcnt(0)
	s_delay_alu instid0(VALU_DEP_2) | instskip(NEXT) | instid1(VALU_DEP_2)
	v_fmac_f32_e32 v4, v33, v39
	v_fmac_f32_e32 v26, v34, v39
	s_delay_alu instid0(VALU_DEP_2) | instskip(NEXT) | instid1(VALU_DEP_2)
	v_fma_f32 v27, -v34, v40, v4
	v_fmac_f32_e32 v26, v33, v40
	s_cbranch_scc1 .LBB47_19
	s_branch .LBB47_14
.LBB47_20:                              ;   in Loop: Header=BB47_12 Depth=1
	s_or_b32 exec_lo, exec_lo, s18
.LBB47_21:                              ;   in Loop: Header=BB47_12 Depth=1
	s_delay_alu instid0(SALU_CYCLE_1) | instskip(NEXT) | instid1(SALU_CYCLE_1)
	s_or_b32 exec_lo, exec_lo, s16
	s_mov_b32 s1, exec_lo
	v_cmpx_gt_i32_e64 s22, v2
	s_cbranch_execz .LBB47_11
; %bb.22:                               ;   in Loop: Header=BB47_12 Depth=1
	s_and_saveexec_b32 s16, s4
	s_delay_alu instid0(SALU_CYCLE_1)
	s_xor_b32 s16, exec_lo, s16
	s_cbranch_execz .LBB47_27
; %bb.23:                               ;   in Loop: Header=BB47_12 Depth=1
	s_and_b32 vcc_lo, exec_lo, s5
	s_mov_b32 s18, -1
	s_cbranch_vccz .LBB47_25
; %bb.24:                               ;   in Loop: Header=BB47_12 Depth=1
	v_lshlrev_b64 v[4:5], 3, v[2:3]
	v_mul_f32_e64 v0, v26, -v11
	v_mul_f32_e32 v9, v26, v10
	s_mov_b32 s18, 0
	s_delay_alu instid0(VALU_DEP_3) | instskip(NEXT) | instid1(VALU_DEP_4)
	v_add_co_u32 v4, vcc_lo, v22, v4
	v_add_co_ci_u32_e32 v5, vcc_lo, v23, v5, vcc_lo
	global_load_b64 v[6:7], v[4:5], off
	v_fmac_f32_e32 v9, v11, v27
	s_waitcnt vmcnt(0)
	s_delay_alu instid0(VALU_DEP_1) | instskip(NEXT) | instid1(VALU_DEP_1)
	v_dual_fmac_f32 v0, v10, v27 :: v_dual_fmac_f32 v9, v13, v6
	v_fmac_f32_e32 v0, v12, v6
	s_delay_alu instid0(VALU_DEP_2) | instskip(NEXT) | instid1(VALU_DEP_2)
	v_fmac_f32_e32 v9, v12, v7
	v_fma_f32 v8, -v13, v7, v0
	global_store_b64 v[4:5], v[8:9], off
.LBB47_25:                              ;   in Loop: Header=BB47_12 Depth=1
	s_and_not1_b32 vcc_lo, exec_lo, s18
	s_cbranch_vccnz .LBB47_27
; %bb.26:                               ;   in Loop: Header=BB47_12 Depth=1
	v_mul_lo_u32 v0, v3, s14
	v_mul_lo_u32 v5, v2, s15
	v_mad_u64_u32 v[3:4], null, v2, s14, 0
	s_delay_alu instid0(VALU_DEP_1) | instskip(SKIP_1) | instid1(VALU_DEP_2)
	v_add3_u32 v4, v4, v5, v0
	v_mul_f32_e64 v0, v26, -v11
	v_lshlrev_b64 v[2:3], 3, v[3:4]
	s_delay_alu instid0(VALU_DEP_1) | instskip(NEXT) | instid1(VALU_DEP_2)
	v_add_co_u32 v2, vcc_lo, v20, v2
	v_add_co_ci_u32_e32 v3, vcc_lo, v21, v3, vcc_lo
	global_load_b64 v[4:5], v[2:3], off
	v_fmac_f32_e32 v0, v10, v27
	v_mul_f32_e32 v7, v26, v10
                                        ; implicit-def: $vgpr26
	s_waitcnt vmcnt(0)
	s_delay_alu instid0(VALU_DEP_1) | instskip(NEXT) | instid1(VALU_DEP_1)
	v_dual_fmac_f32 v0, v12, v4 :: v_dual_fmac_f32 v7, v11, v27
                                        ; implicit-def: $vgpr27
	v_fma_f32 v6, -v13, v5, v0
	s_delay_alu instid0(VALU_DEP_2) | instskip(NEXT) | instid1(VALU_DEP_1)
	v_fmac_f32_e32 v7, v13, v4
	v_fmac_f32_e32 v7, v12, v5
	global_store_b64 v[2:3], v[6:7], off
                                        ; implicit-def: $vgpr2
.LBB47_27:                              ;   in Loop: Header=BB47_12 Depth=1
	s_and_not1_saveexec_b32 s16, s16
	s_cbranch_execz .LBB47_11
; %bb.28:                               ;   in Loop: Header=BB47_12 Depth=1
	v_mul_f32_e64 v4, v26, -v11
	v_mul_f32_e32 v5, v26, v10
	s_and_b32 vcc_lo, exec_lo, s5
	s_mov_b32 s16, -1
	s_delay_alu instid0(VALU_DEP_2) | instskip(NEXT) | instid1(VALU_DEP_2)
	v_fmac_f32_e32 v4, v10, v27
	v_fmac_f32_e32 v5, v11, v27
	s_cbranch_vccz .LBB47_30
; %bb.29:                               ;   in Loop: Header=BB47_12 Depth=1
	v_lshlrev_b64 v[6:7], 3, v[2:3]
	s_mov_b32 s16, 0
	s_delay_alu instid0(VALU_DEP_1) | instskip(NEXT) | instid1(VALU_DEP_2)
	v_add_co_u32 v6, vcc_lo, v22, v6
	v_add_co_ci_u32_e32 v7, vcc_lo, v23, v7, vcc_lo
	global_store_b64 v[6:7], v[4:5], off
.LBB47_30:                              ;   in Loop: Header=BB47_12 Depth=1
	s_and_not1_b32 vcc_lo, exec_lo, s16
	s_cbranch_vccnz .LBB47_11
; %bb.31:                               ;   in Loop: Header=BB47_12 Depth=1
	v_mul_lo_u32 v0, v3, s14
	v_mul_lo_u32 v3, v2, s15
	v_mad_u64_u32 v[6:7], null, v2, s14, 0
	s_delay_alu instid0(VALU_DEP_1) | instskip(NEXT) | instid1(VALU_DEP_1)
	v_add3_u32 v7, v7, v3, v0
	v_lshlrev_b64 v[2:3], 3, v[6:7]
	s_delay_alu instid0(VALU_DEP_1) | instskip(NEXT) | instid1(VALU_DEP_2)
	v_add_co_u32 v2, vcc_lo, v20, v2
	v_add_co_ci_u32_e32 v3, vcc_lo, v21, v3, vcc_lo
	global_store_b64 v[2:3], v[4:5], off
	s_branch .LBB47_11
.LBB47_32:
	s_nop 0
	s_sendmsg sendmsg(MSG_DEALLOC_VGPRS)
	s_endpgm
.LBB47_33:
	v_dual_mov_b32 v1, s4 :: v_dual_mov_b32 v2, s5
	flat_load_b32 v10, v[1:2]
	v_cndmask_b32_e64 v1, 0, 1, s6
	v_mov_b32_e32 v11, s5
	s_and_not1_b32 vcc_lo, exec_lo, s6
	s_cbranch_vccnz .LBB47_2
.LBB47_34:
	v_dual_mov_b32 v2, s4 :: v_dual_mov_b32 v3, s5
	flat_load_b32 v11, v[2:3] offset:4
	v_cmp_ne_u32_e32 vcc_lo, 1, v1
	v_mov_b32_e32 v12, s2
	s_cbranch_vccnz .LBB47_3
.LBB47_35:
	v_dual_mov_b32 v2, s2 :: v_dual_mov_b32 v3, s3
	flat_load_b32 v12, v[2:3]
	v_cmp_ne_u32_e32 vcc_lo, 1, v1
	v_mov_b32_e32 v13, s3
	s_cbranch_vccz .LBB47_4
	s_branch .LBB47_5
	.section	.rodata,"a",@progbits
	.p2align	6, 0x0
	.amdhsa_kernel _ZN9rocsparseL29bsrmmnt_small_blockdim_kernelILj64ELj32ELj2Eii21rocsparse_complex_numIfES2_S2_S2_EEv20rocsparse_direction_T3_S4_llNS_24const_host_device_scalarIT7_EEPKT2_PKS4_PKT4_PKT5_llS7_PT6_ll16rocsparse_order_21rocsparse_index_base_b
		.amdhsa_group_segment_fixed_size 1792
		.amdhsa_private_segment_fixed_size 0
		.amdhsa_kernarg_size 392
		.amdhsa_user_sgpr_count 15
		.amdhsa_user_sgpr_dispatch_ptr 0
		.amdhsa_user_sgpr_queue_ptr 0
		.amdhsa_user_sgpr_kernarg_segment_ptr 1
		.amdhsa_user_sgpr_dispatch_id 0
		.amdhsa_user_sgpr_private_segment_size 0
		.amdhsa_wavefront_size32 1
		.amdhsa_uses_dynamic_stack 0
		.amdhsa_enable_private_segment 0
		.amdhsa_system_sgpr_workgroup_id_x 1
		.amdhsa_system_sgpr_workgroup_id_y 0
		.amdhsa_system_sgpr_workgroup_id_z 0
		.amdhsa_system_sgpr_workgroup_info 0
		.amdhsa_system_vgpr_workitem_id 0
		.amdhsa_next_free_vgpr 42
		.amdhsa_next_free_sgpr 24
		.amdhsa_reserve_vcc 1
		.amdhsa_float_round_mode_32 0
		.amdhsa_float_round_mode_16_64 0
		.amdhsa_float_denorm_mode_32 3
		.amdhsa_float_denorm_mode_16_64 3
		.amdhsa_dx10_clamp 1
		.amdhsa_ieee_mode 1
		.amdhsa_fp16_overflow 0
		.amdhsa_workgroup_processor_mode 1
		.amdhsa_memory_ordered 1
		.amdhsa_forward_progress 0
		.amdhsa_shared_vgpr_count 0
		.amdhsa_exception_fp_ieee_invalid_op 0
		.amdhsa_exception_fp_denorm_src 0
		.amdhsa_exception_fp_ieee_div_zero 0
		.amdhsa_exception_fp_ieee_overflow 0
		.amdhsa_exception_fp_ieee_underflow 0
		.amdhsa_exception_fp_ieee_inexact 0
		.amdhsa_exception_int_div_zero 0
	.end_amdhsa_kernel
	.section	.text._ZN9rocsparseL29bsrmmnt_small_blockdim_kernelILj64ELj32ELj2Eii21rocsparse_complex_numIfES2_S2_S2_EEv20rocsparse_direction_T3_S4_llNS_24const_host_device_scalarIT7_EEPKT2_PKS4_PKT4_PKT5_llS7_PT6_ll16rocsparse_order_21rocsparse_index_base_b,"axG",@progbits,_ZN9rocsparseL29bsrmmnt_small_blockdim_kernelILj64ELj32ELj2Eii21rocsparse_complex_numIfES2_S2_S2_EEv20rocsparse_direction_T3_S4_llNS_24const_host_device_scalarIT7_EEPKT2_PKS4_PKT4_PKT5_llS7_PT6_ll16rocsparse_order_21rocsparse_index_base_b,comdat
.Lfunc_end47:
	.size	_ZN9rocsparseL29bsrmmnt_small_blockdim_kernelILj64ELj32ELj2Eii21rocsparse_complex_numIfES2_S2_S2_EEv20rocsparse_direction_T3_S4_llNS_24const_host_device_scalarIT7_EEPKT2_PKS4_PKT4_PKT5_llS7_PT6_ll16rocsparse_order_21rocsparse_index_base_b, .Lfunc_end47-_ZN9rocsparseL29bsrmmnt_small_blockdim_kernelILj64ELj32ELj2Eii21rocsparse_complex_numIfES2_S2_S2_EEv20rocsparse_direction_T3_S4_llNS_24const_host_device_scalarIT7_EEPKT2_PKS4_PKT4_PKT5_llS7_PT6_ll16rocsparse_order_21rocsparse_index_base_b
                                        ; -- End function
	.section	.AMDGPU.csdata,"",@progbits
; Kernel info:
; codeLenInByte = 1964
; NumSgprs: 26
; NumVgprs: 42
; ScratchSize: 0
; MemoryBound: 0
; FloatMode: 240
; IeeeMode: 1
; LDSByteSize: 1792 bytes/workgroup (compile time only)
; SGPRBlocks: 3
; VGPRBlocks: 5
; NumSGPRsForWavesPerEU: 26
; NumVGPRsForWavesPerEU: 42
; Occupancy: 16
; WaveLimiterHint : 1
; COMPUTE_PGM_RSRC2:SCRATCH_EN: 0
; COMPUTE_PGM_RSRC2:USER_SGPR: 15
; COMPUTE_PGM_RSRC2:TRAP_HANDLER: 0
; COMPUTE_PGM_RSRC2:TGID_X_EN: 1
; COMPUTE_PGM_RSRC2:TGID_Y_EN: 0
; COMPUTE_PGM_RSRC2:TGID_Z_EN: 0
; COMPUTE_PGM_RSRC2:TIDIG_COMP_CNT: 0
	.section	.text._ZN9rocsparseL29bsrmmnt_small_blockdim_kernelILj64ELj64ELj2Eii21rocsparse_complex_numIfES2_S2_S2_EEv20rocsparse_direction_T3_S4_llNS_24const_host_device_scalarIT7_EEPKT2_PKS4_PKT4_PKT5_llS7_PT6_ll16rocsparse_order_21rocsparse_index_base_b,"axG",@progbits,_ZN9rocsparseL29bsrmmnt_small_blockdim_kernelILj64ELj64ELj2Eii21rocsparse_complex_numIfES2_S2_S2_EEv20rocsparse_direction_T3_S4_llNS_24const_host_device_scalarIT7_EEPKT2_PKS4_PKT4_PKT5_llS7_PT6_ll16rocsparse_order_21rocsparse_index_base_b,comdat
	.globl	_ZN9rocsparseL29bsrmmnt_small_blockdim_kernelILj64ELj64ELj2Eii21rocsparse_complex_numIfES2_S2_S2_EEv20rocsparse_direction_T3_S4_llNS_24const_host_device_scalarIT7_EEPKT2_PKS4_PKT4_PKT5_llS7_PT6_ll16rocsparse_order_21rocsparse_index_base_b ; -- Begin function _ZN9rocsparseL29bsrmmnt_small_blockdim_kernelILj64ELj64ELj2Eii21rocsparse_complex_numIfES2_S2_S2_EEv20rocsparse_direction_T3_S4_llNS_24const_host_device_scalarIT7_EEPKT2_PKS4_PKT4_PKT5_llS7_PT6_ll16rocsparse_order_21rocsparse_index_base_b
	.p2align	8
	.type	_ZN9rocsparseL29bsrmmnt_small_blockdim_kernelILj64ELj64ELj2Eii21rocsparse_complex_numIfES2_S2_S2_EEv20rocsparse_direction_T3_S4_llNS_24const_host_device_scalarIT7_EEPKT2_PKS4_PKT4_PKT5_llS7_PT6_ll16rocsparse_order_21rocsparse_index_base_b,@function
_ZN9rocsparseL29bsrmmnt_small_blockdim_kernelILj64ELj64ELj2Eii21rocsparse_complex_numIfES2_S2_S2_EEv20rocsparse_direction_T3_S4_llNS_24const_host_device_scalarIT7_EEPKT2_PKS4_PKT4_PKT5_llS7_PT6_ll16rocsparse_order_21rocsparse_index_base_b: ; @_ZN9rocsparseL29bsrmmnt_small_blockdim_kernelILj64ELj64ELj2Eii21rocsparse_complex_numIfES2_S2_S2_EEv20rocsparse_direction_T3_S4_llNS_24const_host_device_scalarIT7_EEPKT2_PKS4_PKT4_PKT5_llS7_PT6_ll16rocsparse_order_21rocsparse_index_base_b
; %bb.0:
	s_clause 0x2
	s_load_b128 s[16:19], s[0:1], 0x78
	s_load_b64 s[4:5], s[0:1], 0x20
	s_load_b64 s[2:3], s[0:1], 0x58
	s_waitcnt lgkmcnt(0)
	s_bitcmp1_b32 s18, 0
	v_mov_b32_e32 v11, s4
	s_cselect_b32 s6, -1, 0
	s_delay_alu instid0(SALU_CYCLE_1)
	s_and_b32 vcc_lo, exec_lo, s6
	s_xor_b32 s6, s6, -1
	s_cbranch_vccz .LBB48_33
; %bb.1:
	v_cndmask_b32_e64 v1, 0, 1, s6
	v_mov_b32_e32 v12, s5
	s_and_not1_b32 vcc_lo, exec_lo, s6
	s_cbranch_vccz .LBB48_34
.LBB48_2:
	s_delay_alu instid0(VALU_DEP_2)
	v_cmp_ne_u32_e32 vcc_lo, 1, v1
	v_mov_b32_e32 v13, s2
	s_cbranch_vccz .LBB48_35
.LBB48_3:
	v_cmp_ne_u32_e32 vcc_lo, 1, v1
	v_mov_b32_e32 v14, s3
	s_cbranch_vccnz .LBB48_5
.LBB48_4:
	v_dual_mov_b32 v1, s2 :: v_dual_mov_b32 v2, s3
	flat_load_b32 v14, v[1:2] offset:4
.LBB48_5:
	s_waitcnt vmcnt(0) lgkmcnt(0)
	v_cmp_eq_f32_e32 vcc_lo, 0, v11
	v_cmp_eq_f32_e64 s2, 0, v12
	s_delay_alu instid0(VALU_DEP_1)
	s_and_b32 s4, vcc_lo, s2
	s_mov_b32 s2, -1
	s_and_saveexec_b32 s3, s4
; %bb.6:
	v_cmp_neq_f32_e32 vcc_lo, 1.0, v13
	v_cmp_neq_f32_e64 s2, 0, v14
	s_delay_alu instid0(VALU_DEP_1) | instskip(NEXT) | instid1(SALU_CYCLE_1)
	s_or_b32 s2, vcc_lo, s2
	s_or_not1_b32 s2, s2, exec_lo
; %bb.7:
	s_or_b32 exec_lo, exec_lo, s3
	s_and_saveexec_b32 s3, s2
	s_cbranch_execz .LBB48_32
; %bb.8:
	s_clause 0x1
	s_load_b32 s2, s[0:1], 0x94
	s_load_b128 s[20:23], s[0:1], 0x0
	s_waitcnt lgkmcnt(0)
	s_and_b32 s2, s2, 0xffff
	s_delay_alu instid0(SALU_CYCLE_1) | instskip(NEXT) | instid1(VALU_DEP_1)
	v_mad_u64_u32 v[1:2], null, s15, s2, v[0:1]
	v_lshrrev_b32_e32 v2, 7, v1
	s_delay_alu instid0(VALU_DEP_1)
	v_cmp_gt_i32_e32 vcc_lo, s21, v2
	s_and_b32 exec_lo, exec_lo, vcc_lo
	s_cbranch_execz .LBB48_32
; %bb.9:
	s_cmp_lt_i32 s22, 1
	s_cbranch_scc1 .LBB48_32
; %bb.10:
	s_clause 0x1
	s_load_b128 s[12:15], s[0:1], 0x60
	s_load_b64 s[2:3], s[0:1], 0x48
	v_lshrrev_b32_e32 v8, 6, v1
	s_load_b256 s[4:11], s[0:1], 0x28
	v_cmp_neq_f32_e32 vcc_lo, 0, v13
	v_cmp_neq_f32_e64 s0, 0, v14
	v_bfe_u32 v1, v1, 6, 1
	v_lshl_or_b32 v15, v0, 2, 0x600
	s_waitcnt lgkmcnt(0)
	v_mad_u64_u32 v[4:5], null, v8, s14, 0
	s_delay_alu instid0(VALU_DEP_1) | instskip(SKIP_2) | instid1(VALU_DEP_3)
	v_mad_u64_u32 v[6:7], null, v8, s15, v[5:6]
	v_lshlrev_b32_e32 v2, 2, v2
	v_mul_u32_u24_e32 v7, 3, v0
	v_mov_b32_e32 v5, v6
	global_load_b64 v[2:3], v2, s[4:5]
	s_or_b32 s4, vcc_lo, s0
	s_cmp_lg_u32 s16, 1
	v_lshlrev_b32_e32 v6, 3, v8
	s_cselect_b32 s5, -1, 0
	s_cmp_eq_u32 s20, 0
	v_lshlrev_b64 v[4:5], 3, v[4:5]
	s_cselect_b32 s1, -1, 0
	v_add_co_u32 v18, s0, s12, v6
	v_cndmask_b32_e64 v9, 0, 1, s1
	v_lshlrev_b32_e32 v16, 3, v7
	s_delay_alu instid0(VALU_DEP_4) | instskip(SKIP_1) | instid1(VALU_DEP_4)
	v_add_co_u32 v20, vcc_lo, s12, v4
	v_add_co_ci_u32_e64 v19, null, s13, 0, s0
	v_lshlrev_b32_e32 v17, v9, v1
	v_add_co_ci_u32_e32 v21, vcc_lo, s13, v5, vcc_lo
	s_and_b32 s1, s1, exec_lo
	s_mov_b32 s12, 0
	s_cselect_b32 s13, 1, 2
	s_waitcnt vmcnt(0)
	v_subrev_nc_u32_e32 v22, s17, v2
	v_subrev_nc_u32_e32 v23, s17, v3
	v_cmp_lt_i32_e64 s0, v2, v3
	v_mov_b32_e32 v2, 0
	s_branch .LBB48_12
.LBB48_11:                              ;   in Loop: Header=BB48_12 Depth=1
	s_or_b32 exec_lo, exec_lo, s1
	s_add_i32 s12, s12, 64
	s_delay_alu instid0(SALU_CYCLE_1)
	s_cmp_lt_i32 s12, s22
	s_cbranch_scc0 .LBB48_32
.LBB48_12:                              ; =>This Loop Header: Depth=1
                                        ;     Child Loop BB48_15 Depth 2
                                        ;       Child Loop BB48_19 Depth 3
	v_or_b32_e32 v3, s12, v0
	v_dual_mov_b32 v24, 0 :: v_dual_mov_b32 v25, 0
	s_delay_alu instid0(VALU_DEP_2)
	v_ashrrev_i32_e32 v4, 31, v3
	s_and_saveexec_b32 s16, s0
	s_cbranch_execz .LBB48_21
; %bb.13:                               ;   in Loop: Header=BB48_12 Depth=1
	s_delay_alu instid0(VALU_DEP_1) | instskip(SKIP_4) | instid1(VALU_DEP_4)
	v_lshlrev_b64 v[5:6], 3, v[3:4]
	v_cmp_gt_i32_e32 vcc_lo, s22, v3
	v_dual_mov_b32 v24, 0 :: v_dual_mov_b32 v25, 0
	v_mov_b32_e32 v28, v22
	s_mov_b32 s18, 0
	v_add_co_u32 v26, s1, s10, v5
	s_delay_alu instid0(VALU_DEP_1)
	v_add_co_ci_u32_e64 v27, s1, s11, v6, s1
	s_branch .LBB48_15
.LBB48_14:                              ;   in Loop: Header=BB48_15 Depth=2
	s_or_b32 exec_lo, exec_lo, s19
	v_add_nc_u32_e32 v28, 64, v28
	s_delay_alu instid0(VALU_DEP_1) | instskip(NEXT) | instid1(VALU_DEP_1)
	v_cmp_ge_i32_e64 s1, v28, v23
	s_or_b32 s18, s1, s18
	s_delay_alu instid0(SALU_CYCLE_1)
	s_and_not1_b32 exec_lo, exec_lo, s18
	s_cbranch_execz .LBB48_20
.LBB48_15:                              ;   Parent Loop BB48_12 Depth=1
                                        ; =>  This Loop Header: Depth=2
                                        ;       Child Loop BB48_19 Depth 3
	v_dual_mov_b32 v6, 0 :: v_dual_add_nc_u32 v9, v28, v0
	v_dual_mov_b32 v1, 0 :: v_dual_mov_b32 v8, 0
	v_mov_b32_e32 v5, 0
	v_mov_b32_e32 v7, 0
	s_mov_b32 s19, exec_lo
	v_cmpx_lt_i32_e64 v9, v23
	s_cbranch_execz .LBB48_17
; %bb.16:                               ;   in Loop: Header=BB48_15 Depth=2
	v_ashrrev_i32_e32 v10, 31, v9
	v_lshl_or_b32 v1, v9, 2, v17
	s_delay_alu instid0(VALU_DEP_2) | instskip(NEXT) | instid1(VALU_DEP_2)
	v_lshlrev_b64 v[5:6], 2, v[9:10]
	v_lshlrev_b64 v[7:8], 3, v[1:2]
	v_or_b32_e32 v1, s13, v1
	s_delay_alu instid0(VALU_DEP_3) | instskip(NEXT) | instid1(VALU_DEP_1)
	v_add_co_u32 v5, s1, s6, v5
	v_add_co_ci_u32_e64 v6, s1, s7, v6, s1
	s_delay_alu instid0(VALU_DEP_3) | instskip(SKIP_2) | instid1(VALU_DEP_1)
	v_lshlrev_b64 v[9:10], 3, v[1:2]
	global_load_b32 v1, v[5:6], off
	v_add_co_u32 v5, s1, s8, v7
	v_add_co_ci_u32_e64 v6, s1, s9, v8, s1
	v_add_co_u32 v7, s1, s8, v9
	s_delay_alu instid0(VALU_DEP_1)
	v_add_co_ci_u32_e64 v8, s1, s9, v10, s1
	s_clause 0x1
	global_load_b64 v[5:6], v[5:6], off
	global_load_b64 v[7:8], v[7:8], off
	s_waitcnt vmcnt(2)
	v_subrev_nc_u32_e32 v1, s17, v1
	s_delay_alu instid0(VALU_DEP_1)
	v_lshlrev_b32_e32 v1, 1, v1
.LBB48_17:                              ;   in Loop: Header=BB48_15 Depth=2
	s_or_b32 exec_lo, exec_lo, s19
	ds_store_b32 v15, v1
	s_waitcnt vmcnt(0)
	ds_store_2addr_b64 v16, v[5:6], v[7:8] offset1:1
	s_waitcnt lgkmcnt(0)
	s_waitcnt_vscnt null, 0x0
	s_barrier
	buffer_gl0_inv
	s_and_saveexec_b32 s19, vcc_lo
	s_cbranch_execz .LBB48_14
; %bb.18:                               ;   in Loop: Header=BB48_15 Depth=2
	v_mov_b32_e32 v1, 0
	s_mov_b32 s20, 0
.LBB48_19:                              ;   Parent Loop BB48_12 Depth=1
                                        ;     Parent Loop BB48_15 Depth=2
                                        ; =>    This Inner Loop Header: Depth=3
	s_delay_alu instid0(SALU_CYCLE_1) | instskip(SKIP_1) | instid1(SALU_CYCLE_1)
	v_add_nc_u32_e64 v5, 0x600, s20
	s_add_i32 s20, s20, 8
	s_cmpk_lg_i32 s20, 0x100
	ds_load_b64 v[5:6], v5
	s_waitcnt lgkmcnt(0)
	v_ashrrev_i32_e32 v29, 31, v5
	v_mul_lo_u32 v31, v5, s3
	v_mad_u64_u32 v[7:8], null, v5, s2, 0
	v_add_nc_u32_e32 v30, 1, v5
	s_delay_alu instid0(VALU_DEP_4)
	v_mul_lo_u32 v35, v29, s2
	v_add_nc_u32_e32 v34, 1, v6
	v_ashrrev_i32_e32 v32, 31, v6
	v_mul_lo_u32 v33, v6, s3
	v_ashrrev_i32_e32 v36, 31, v30
	v_mad_u64_u32 v[9:10], null, v6, s2, 0
	v_mul_lo_u32 v37, v30, s3
	v_add3_u32 v8, v8, v31, v35
	v_mad_u64_u32 v[5:6], null, v30, s2, 0
	v_ashrrev_i32_e32 v38, 31, v34
	v_mul_lo_u32 v39, v34, s3
	v_mad_u64_u32 v[29:30], null, v34, s2, 0
	v_mul_lo_u32 v34, v36, s2
	v_lshlrev_b64 v[7:8], 3, v[7:8]
	v_mul_lo_u32 v32, v32, s2
	v_mul_lo_u32 v36, v38, s2
	s_delay_alu instid0(VALU_DEP_3) | instskip(SKIP_4) | instid1(VALU_DEP_4)
	v_add_co_u32 v7, s1, v26, v7
	v_add3_u32 v6, v6, v37, v34
	v_add_co_ci_u32_e64 v8, s1, v27, v8, s1
	v_add3_u32 v10, v10, v33, v32
	v_add3_u32 v30, v30, v39, v36
	v_lshlrev_b64 v[5:6], 3, v[5:6]
	global_load_b64 v[33:34], v[7:8], off
	v_lshlrev_b64 v[7:8], 3, v[9:10]
	v_add_co_u32 v5, s1, v26, v5
	s_delay_alu instid0(VALU_DEP_1) | instskip(SKIP_2) | instid1(VALU_DEP_1)
	v_add_co_ci_u32_e64 v6, s1, v27, v6, s1
	global_load_b64 v[9:10], v[5:6], off
	v_add_co_u32 v5, s1, v26, v7
	v_add_co_ci_u32_e64 v6, s1, v27, v8, s1
	v_lshlrev_b64 v[7:8], 3, v[29:30]
	global_load_b64 v[35:36], v[5:6], off
	v_add_co_u32 v5, s1, v26, v7
	s_delay_alu instid0(VALU_DEP_1)
	v_add_co_ci_u32_e64 v6, s1, v27, v8, s1
	global_load_b64 v[37:38], v[5:6], off
	ds_load_b128 v[5:8], v1
	ds_load_2addr_b64 v[29:32], v1 offset0:3 offset1:4
	v_add_nc_u32_e32 v1, 48, v1
	s_waitcnt vmcnt(3) lgkmcnt(1)
	v_fmac_f32_e32 v25, v5, v33
	v_fmac_f32_e32 v24, v6, v33
	s_delay_alu instid0(VALU_DEP_2) | instskip(NEXT) | instid1(VALU_DEP_2)
	v_fma_f32 v6, -v6, v34, v25
	v_fmac_f32_e32 v24, v5, v34
	s_waitcnt vmcnt(2)
	s_delay_alu instid0(VALU_DEP_2) | instskip(NEXT) | instid1(VALU_DEP_1)
	v_fmac_f32_e32 v6, v7, v9
	v_fma_f32 v5, -v8, v10, v6
	s_waitcnt vmcnt(1) lgkmcnt(0)
	s_delay_alu instid0(VALU_DEP_1) | instskip(NEXT) | instid1(VALU_DEP_1)
	v_fmac_f32_e32 v5, v29, v35
	v_fma_f32 v5, -v30, v36, v5
	s_waitcnt vmcnt(0)
	s_delay_alu instid0(VALU_DEP_1) | instskip(SKIP_1) | instid1(VALU_DEP_2)
	v_fmac_f32_e32 v5, v31, v37
	v_fmac_f32_e32 v24, v8, v9
	v_fma_f32 v25, -v32, v38, v5
	s_delay_alu instid0(VALU_DEP_2) | instskip(NEXT) | instid1(VALU_DEP_1)
	v_fmac_f32_e32 v24, v7, v10
	v_fmac_f32_e32 v24, v30, v35
	s_delay_alu instid0(VALU_DEP_1) | instskip(NEXT) | instid1(VALU_DEP_1)
	v_fmac_f32_e32 v24, v29, v36
	v_fmac_f32_e32 v24, v32, v37
	s_delay_alu instid0(VALU_DEP_1)
	v_fmac_f32_e32 v24, v31, v38
	s_cbranch_scc1 .LBB48_19
	s_branch .LBB48_14
.LBB48_20:                              ;   in Loop: Header=BB48_12 Depth=1
	s_or_b32 exec_lo, exec_lo, s18
.LBB48_21:                              ;   in Loop: Header=BB48_12 Depth=1
	s_delay_alu instid0(SALU_CYCLE_1) | instskip(NEXT) | instid1(SALU_CYCLE_1)
	s_or_b32 exec_lo, exec_lo, s16
	s_mov_b32 s1, exec_lo
	v_cmpx_gt_i32_e64 s22, v3
	s_cbranch_execz .LBB48_11
; %bb.22:                               ;   in Loop: Header=BB48_12 Depth=1
	s_and_saveexec_b32 s16, s4
	s_delay_alu instid0(SALU_CYCLE_1)
	s_xor_b32 s16, exec_lo, s16
	s_cbranch_execz .LBB48_27
; %bb.23:                               ;   in Loop: Header=BB48_12 Depth=1
	s_and_b32 vcc_lo, exec_lo, s5
	s_mov_b32 s18, -1
	s_cbranch_vccz .LBB48_25
; %bb.24:                               ;   in Loop: Header=BB48_12 Depth=1
	v_lshlrev_b64 v[5:6], 3, v[3:4]
	v_mul_f32_e64 v1, v24, -v12
	v_mul_f32_e32 v10, v24, v11
	s_mov_b32 s18, 0
	s_delay_alu instid0(VALU_DEP_2) | instskip(NEXT) | instid1(VALU_DEP_4)
	v_fmac_f32_e32 v1, v11, v25
	v_add_co_u32 v5, vcc_lo, v20, v5
	v_add_co_ci_u32_e32 v6, vcc_lo, v21, v6, vcc_lo
	global_load_b64 v[7:8], v[5:6], off
	s_waitcnt vmcnt(0)
	v_dual_fmac_f32 v10, v12, v25 :: v_dual_fmac_f32 v1, v13, v7
	s_delay_alu instid0(VALU_DEP_1) | instskip(NEXT) | instid1(VALU_DEP_2)
	v_fmac_f32_e32 v10, v14, v7
	v_fma_f32 v9, -v14, v8, v1
	s_delay_alu instid0(VALU_DEP_2)
	v_fmac_f32_e32 v10, v13, v8
	global_store_b64 v[5:6], v[9:10], off
.LBB48_25:                              ;   in Loop: Header=BB48_12 Depth=1
	s_and_not1_b32 vcc_lo, exec_lo, s18
	s_cbranch_vccnz .LBB48_27
; %bb.26:                               ;   in Loop: Header=BB48_12 Depth=1
	v_mul_lo_u32 v1, v4, s14
	v_mul_lo_u32 v6, v3, s15
	v_mad_u64_u32 v[4:5], null, v3, s14, 0
	s_delay_alu instid0(VALU_DEP_1) | instskip(SKIP_2) | instid1(VALU_DEP_3)
	v_add3_u32 v5, v5, v6, v1
	v_mul_f32_e64 v1, v24, -v12
	v_mul_f32_e32 v8, v24, v11
                                        ; implicit-def: $vgpr24
	v_lshlrev_b64 v[3:4], 3, v[4:5]
	s_delay_alu instid0(VALU_DEP_3) | instskip(NEXT) | instid1(VALU_DEP_3)
	v_fmac_f32_e32 v1, v11, v25
	v_fmac_f32_e32 v8, v12, v25
                                        ; implicit-def: $vgpr25
	s_delay_alu instid0(VALU_DEP_3) | instskip(NEXT) | instid1(VALU_DEP_4)
	v_add_co_u32 v3, vcc_lo, v18, v3
	v_add_co_ci_u32_e32 v4, vcc_lo, v19, v4, vcc_lo
	global_load_b64 v[5:6], v[3:4], off
	s_waitcnt vmcnt(0)
	v_fmac_f32_e32 v1, v13, v5
	v_fmac_f32_e32 v8, v14, v5
	s_delay_alu instid0(VALU_DEP_2) | instskip(NEXT) | instid1(VALU_DEP_2)
	v_fma_f32 v7, -v14, v6, v1
	v_fmac_f32_e32 v8, v13, v6
	global_store_b64 v[3:4], v[7:8], off
                                        ; implicit-def: $vgpr3
.LBB48_27:                              ;   in Loop: Header=BB48_12 Depth=1
	s_and_not1_saveexec_b32 s16, s16
	s_cbranch_execz .LBB48_11
; %bb.28:                               ;   in Loop: Header=BB48_12 Depth=1
	v_mul_f32_e64 v5, v24, -v12
	v_mul_f32_e32 v6, v24, v11
	s_and_b32 vcc_lo, exec_lo, s5
	s_mov_b32 s16, -1
	s_delay_alu instid0(VALU_DEP_2) | instskip(NEXT) | instid1(VALU_DEP_2)
	v_fmac_f32_e32 v5, v11, v25
	v_fmac_f32_e32 v6, v12, v25
	s_cbranch_vccz .LBB48_30
; %bb.29:                               ;   in Loop: Header=BB48_12 Depth=1
	v_lshlrev_b64 v[7:8], 3, v[3:4]
	s_mov_b32 s16, 0
	s_delay_alu instid0(VALU_DEP_1) | instskip(NEXT) | instid1(VALU_DEP_2)
	v_add_co_u32 v7, vcc_lo, v20, v7
	v_add_co_ci_u32_e32 v8, vcc_lo, v21, v8, vcc_lo
	global_store_b64 v[7:8], v[5:6], off
.LBB48_30:                              ;   in Loop: Header=BB48_12 Depth=1
	s_and_not1_b32 vcc_lo, exec_lo, s16
	s_cbranch_vccnz .LBB48_11
; %bb.31:                               ;   in Loop: Header=BB48_12 Depth=1
	v_mul_lo_u32 v1, v4, s14
	v_mul_lo_u32 v4, v3, s15
	v_mad_u64_u32 v[7:8], null, v3, s14, 0
	s_delay_alu instid0(VALU_DEP_1) | instskip(NEXT) | instid1(VALU_DEP_1)
	v_add3_u32 v8, v8, v4, v1
	v_lshlrev_b64 v[3:4], 3, v[7:8]
	s_delay_alu instid0(VALU_DEP_1) | instskip(NEXT) | instid1(VALU_DEP_2)
	v_add_co_u32 v3, vcc_lo, v18, v3
	v_add_co_ci_u32_e32 v4, vcc_lo, v19, v4, vcc_lo
	global_store_b64 v[3:4], v[5:6], off
	s_branch .LBB48_11
.LBB48_32:
	s_nop 0
	s_sendmsg sendmsg(MSG_DEALLOC_VGPRS)
	s_endpgm
.LBB48_33:
	v_dual_mov_b32 v1, s4 :: v_dual_mov_b32 v2, s5
	flat_load_b32 v11, v[1:2]
	v_cndmask_b32_e64 v1, 0, 1, s6
	v_mov_b32_e32 v12, s5
	s_and_not1_b32 vcc_lo, exec_lo, s6
	s_cbranch_vccnz .LBB48_2
.LBB48_34:
	v_dual_mov_b32 v2, s4 :: v_dual_mov_b32 v3, s5
	flat_load_b32 v12, v[2:3] offset:4
	v_cmp_ne_u32_e32 vcc_lo, 1, v1
	v_mov_b32_e32 v13, s2
	s_cbranch_vccnz .LBB48_3
.LBB48_35:
	v_dual_mov_b32 v2, s2 :: v_dual_mov_b32 v3, s3
	flat_load_b32 v13, v[2:3]
	v_cmp_ne_u32_e32 vcc_lo, 1, v1
	v_mov_b32_e32 v14, s3
	s_cbranch_vccz .LBB48_4
	s_branch .LBB48_5
	.section	.rodata,"a",@progbits
	.p2align	6, 0x0
	.amdhsa_kernel _ZN9rocsparseL29bsrmmnt_small_blockdim_kernelILj64ELj64ELj2Eii21rocsparse_complex_numIfES2_S2_S2_EEv20rocsparse_direction_T3_S4_llNS_24const_host_device_scalarIT7_EEPKT2_PKS4_PKT4_PKT5_llS7_PT6_ll16rocsparse_order_21rocsparse_index_base_b
		.amdhsa_group_segment_fixed_size 1792
		.amdhsa_private_segment_fixed_size 0
		.amdhsa_kernarg_size 392
		.amdhsa_user_sgpr_count 15
		.amdhsa_user_sgpr_dispatch_ptr 0
		.amdhsa_user_sgpr_queue_ptr 0
		.amdhsa_user_sgpr_kernarg_segment_ptr 1
		.amdhsa_user_sgpr_dispatch_id 0
		.amdhsa_user_sgpr_private_segment_size 0
		.amdhsa_wavefront_size32 1
		.amdhsa_uses_dynamic_stack 0
		.amdhsa_enable_private_segment 0
		.amdhsa_system_sgpr_workgroup_id_x 1
		.amdhsa_system_sgpr_workgroup_id_y 0
		.amdhsa_system_sgpr_workgroup_id_z 0
		.amdhsa_system_sgpr_workgroup_info 0
		.amdhsa_system_vgpr_workitem_id 0
		.amdhsa_next_free_vgpr 40
		.amdhsa_next_free_sgpr 24
		.amdhsa_reserve_vcc 1
		.amdhsa_float_round_mode_32 0
		.amdhsa_float_round_mode_16_64 0
		.amdhsa_float_denorm_mode_32 3
		.amdhsa_float_denorm_mode_16_64 3
		.amdhsa_dx10_clamp 1
		.amdhsa_ieee_mode 1
		.amdhsa_fp16_overflow 0
		.amdhsa_workgroup_processor_mode 1
		.amdhsa_memory_ordered 1
		.amdhsa_forward_progress 0
		.amdhsa_shared_vgpr_count 0
		.amdhsa_exception_fp_ieee_invalid_op 0
		.amdhsa_exception_fp_denorm_src 0
		.amdhsa_exception_fp_ieee_div_zero 0
		.amdhsa_exception_fp_ieee_overflow 0
		.amdhsa_exception_fp_ieee_underflow 0
		.amdhsa_exception_fp_ieee_inexact 0
		.amdhsa_exception_int_div_zero 0
	.end_amdhsa_kernel
	.section	.text._ZN9rocsparseL29bsrmmnt_small_blockdim_kernelILj64ELj64ELj2Eii21rocsparse_complex_numIfES2_S2_S2_EEv20rocsparse_direction_T3_S4_llNS_24const_host_device_scalarIT7_EEPKT2_PKS4_PKT4_PKT5_llS7_PT6_ll16rocsparse_order_21rocsparse_index_base_b,"axG",@progbits,_ZN9rocsparseL29bsrmmnt_small_blockdim_kernelILj64ELj64ELj2Eii21rocsparse_complex_numIfES2_S2_S2_EEv20rocsparse_direction_T3_S4_llNS_24const_host_device_scalarIT7_EEPKT2_PKS4_PKT4_PKT5_llS7_PT6_ll16rocsparse_order_21rocsparse_index_base_b,comdat
.Lfunc_end48:
	.size	_ZN9rocsparseL29bsrmmnt_small_blockdim_kernelILj64ELj64ELj2Eii21rocsparse_complex_numIfES2_S2_S2_EEv20rocsparse_direction_T3_S4_llNS_24const_host_device_scalarIT7_EEPKT2_PKS4_PKT4_PKT5_llS7_PT6_ll16rocsparse_order_21rocsparse_index_base_b, .Lfunc_end48-_ZN9rocsparseL29bsrmmnt_small_blockdim_kernelILj64ELj64ELj2Eii21rocsparse_complex_numIfES2_S2_S2_EEv20rocsparse_direction_T3_S4_llNS_24const_host_device_scalarIT7_EEPKT2_PKS4_PKT4_PKT5_llS7_PT6_ll16rocsparse_order_21rocsparse_index_base_b
                                        ; -- End function
	.section	.AMDGPU.csdata,"",@progbits
; Kernel info:
; codeLenInByte = 1920
; NumSgprs: 26
; NumVgprs: 40
; ScratchSize: 0
; MemoryBound: 0
; FloatMode: 240
; IeeeMode: 1
; LDSByteSize: 1792 bytes/workgroup (compile time only)
; SGPRBlocks: 3
; VGPRBlocks: 4
; NumSGPRsForWavesPerEU: 26
; NumVGPRsForWavesPerEU: 40
; Occupancy: 16
; WaveLimiterHint : 1
; COMPUTE_PGM_RSRC2:SCRATCH_EN: 0
; COMPUTE_PGM_RSRC2:USER_SGPR: 15
; COMPUTE_PGM_RSRC2:TRAP_HANDLER: 0
; COMPUTE_PGM_RSRC2:TGID_X_EN: 1
; COMPUTE_PGM_RSRC2:TGID_Y_EN: 0
; COMPUTE_PGM_RSRC2:TGID_Z_EN: 0
; COMPUTE_PGM_RSRC2:TIDIG_COMP_CNT: 0
	.section	.text._ZN9rocsparseL29bsrmmnt_small_blockdim_kernelILj64ELj8ELj2Eli21rocsparse_complex_numIfES2_S2_S2_EEv20rocsparse_direction_T3_S4_llNS_24const_host_device_scalarIT7_EEPKT2_PKS4_PKT4_PKT5_llS7_PT6_ll16rocsparse_order_21rocsparse_index_base_b,"axG",@progbits,_ZN9rocsparseL29bsrmmnt_small_blockdim_kernelILj64ELj8ELj2Eli21rocsparse_complex_numIfES2_S2_S2_EEv20rocsparse_direction_T3_S4_llNS_24const_host_device_scalarIT7_EEPKT2_PKS4_PKT4_PKT5_llS7_PT6_ll16rocsparse_order_21rocsparse_index_base_b,comdat
	.globl	_ZN9rocsparseL29bsrmmnt_small_blockdim_kernelILj64ELj8ELj2Eli21rocsparse_complex_numIfES2_S2_S2_EEv20rocsparse_direction_T3_S4_llNS_24const_host_device_scalarIT7_EEPKT2_PKS4_PKT4_PKT5_llS7_PT6_ll16rocsparse_order_21rocsparse_index_base_b ; -- Begin function _ZN9rocsparseL29bsrmmnt_small_blockdim_kernelILj64ELj8ELj2Eli21rocsparse_complex_numIfES2_S2_S2_EEv20rocsparse_direction_T3_S4_llNS_24const_host_device_scalarIT7_EEPKT2_PKS4_PKT4_PKT5_llS7_PT6_ll16rocsparse_order_21rocsparse_index_base_b
	.p2align	8
	.type	_ZN9rocsparseL29bsrmmnt_small_blockdim_kernelILj64ELj8ELj2Eli21rocsparse_complex_numIfES2_S2_S2_EEv20rocsparse_direction_T3_S4_llNS_24const_host_device_scalarIT7_EEPKT2_PKS4_PKT4_PKT5_llS7_PT6_ll16rocsparse_order_21rocsparse_index_base_b,@function
_ZN9rocsparseL29bsrmmnt_small_blockdim_kernelILj64ELj8ELj2Eli21rocsparse_complex_numIfES2_S2_S2_EEv20rocsparse_direction_T3_S4_llNS_24const_host_device_scalarIT7_EEPKT2_PKS4_PKT4_PKT5_llS7_PT6_ll16rocsparse_order_21rocsparse_index_base_b: ; @_ZN9rocsparseL29bsrmmnt_small_blockdim_kernelILj64ELj8ELj2Eli21rocsparse_complex_numIfES2_S2_S2_EEv20rocsparse_direction_T3_S4_llNS_24const_host_device_scalarIT7_EEPKT2_PKS4_PKT4_PKT5_llS7_PT6_ll16rocsparse_order_21rocsparse_index_base_b
; %bb.0:
	s_clause 0x2
	s_load_b128 s[16:19], s[0:1], 0x78
	s_load_b64 s[4:5], s[0:1], 0x20
	s_load_b64 s[2:3], s[0:1], 0x58
	s_waitcnt lgkmcnt(0)
	s_bitcmp1_b32 s18, 0
	v_mov_b32_e32 v14, s4
	s_cselect_b32 s6, -1, 0
	s_delay_alu instid0(SALU_CYCLE_1)
	s_and_b32 vcc_lo, exec_lo, s6
	s_xor_b32 s6, s6, -1
	s_cbranch_vccz .LBB49_35
; %bb.1:
	v_cndmask_b32_e64 v1, 0, 1, s6
	v_mov_b32_e32 v15, s5
	s_and_not1_b32 vcc_lo, exec_lo, s6
	s_cbranch_vccz .LBB49_36
.LBB49_2:
	s_delay_alu instid0(VALU_DEP_2)
	v_cmp_ne_u32_e32 vcc_lo, 1, v1
	v_mov_b32_e32 v16, s2
	s_cbranch_vccz .LBB49_37
.LBB49_3:
	v_cmp_ne_u32_e32 vcc_lo, 1, v1
	v_mov_b32_e32 v17, s3
	s_cbranch_vccnz .LBB49_5
.LBB49_4:
	v_dual_mov_b32 v1, s2 :: v_dual_mov_b32 v2, s3
	flat_load_b32 v17, v[1:2] offset:4
.LBB49_5:
	s_waitcnt vmcnt(0) lgkmcnt(0)
	v_cmp_eq_f32_e32 vcc_lo, 0, v14
	v_cmp_eq_f32_e64 s2, 0, v15
	s_delay_alu instid0(VALU_DEP_1)
	s_and_b32 s4, vcc_lo, s2
	s_mov_b32 s2, -1
	s_and_saveexec_b32 s3, s4
; %bb.6:
	v_cmp_neq_f32_e32 vcc_lo, 1.0, v16
	v_cmp_neq_f32_e64 s2, 0, v17
	s_delay_alu instid0(VALU_DEP_1) | instskip(NEXT) | instid1(SALU_CYCLE_1)
	s_or_b32 s2, vcc_lo, s2
	s_or_not1_b32 s2, s2, exec_lo
; %bb.7:
	s_or_b32 exec_lo, exec_lo, s3
	s_and_saveexec_b32 s3, s2
	s_cbranch_execz .LBB49_34
; %bb.8:
	s_clause 0x1
	s_load_b32 s2, s[0:1], 0x94
	s_load_b128 s[20:23], s[0:1], 0x0
	s_waitcnt lgkmcnt(0)
	s_and_b32 s2, s2, 0xffff
	s_delay_alu instid0(SALU_CYCLE_1) | instskip(NEXT) | instid1(VALU_DEP_1)
	v_mad_u64_u32 v[1:2], null, s15, s2, v[0:1]
	v_lshrrev_b32_e32 v2, 4, v1
	s_delay_alu instid0(VALU_DEP_1)
	v_cmp_gt_i32_e32 vcc_lo, s21, v2
	s_and_b32 exec_lo, exec_lo, vcc_lo
	s_cbranch_execz .LBB49_34
; %bb.9:
	s_cmp_lt_i32 s22, 1
	s_cbranch_scc1 .LBB49_34
; %bb.10:
	s_load_b256 s[4:11], s[0:1], 0x28
	v_dual_mov_b32 v19, 0 :: v_dual_lshlrev_b32 v2, 3, v2
	s_clause 0x1
	s_load_b128 s[12:15], s[0:1], 0x60
	s_load_b64 s[2:3], s[0:1], 0x48
	v_lshrrev_b32_e32 v10, 3, v1
	v_lshrrev_b32_e32 v12, 3, v0
	v_cmp_neq_f32_e32 vcc_lo, 0, v16
	v_cmp_neq_f32_e64 s0, 0, v17
	v_bfe_u32 v11, v1, 3, 1
	s_delay_alu instid0(VALU_DEP_4)
	v_lshl_or_b32 v20, v12, 5, 0x600
	v_mul_u32_u24_e32 v21, 0xc0, v12
	s_waitcnt lgkmcnt(0)
	global_load_b128 v[4:7], v2, s[4:5]
	s_or_b32 s4, vcc_lo, s0
	s_cmp_lg_u32 s16, 1
	v_mad_u64_u32 v[2:3], null, v10, s14, 0
	s_cselect_b32 s5, -1, 0
	s_cmp_eq_u32 s20, 0
	s_cselect_b32 s1, -1, 0
	s_waitcnt vmcnt(0)
	s_delay_alu instid0(VALU_DEP_1)
	v_mad_u64_u32 v[8:9], null, v10, s15, v[3:4]
	v_and_b32_e32 v18, 7, v0
	v_and_b32_e32 v9, -8, v1
	v_cndmask_b32_e64 v10, 0, 1, s1
	v_cmp_lt_i64_e64 s0, v[4:5], v[6:7]
	s_and_b32 s1, s1, exec_lo
	v_mov_b32_e32 v3, v8
	v_mul_u32_u24_e32 v0, 3, v18
	v_lshl_or_b32 v22, v18, 2, v20
	v_lshlrev_b32_e32 v28, v10, v11
	s_delay_alu instid0(VALU_DEP_3) | instskip(SKIP_1) | instid1(VALU_DEP_2)
	v_lshlrev_b32_e32 v8, 3, v0
	v_lshlrev_b64 v[0:1], 3, v[2:3]
	v_mad_u32_u24 v23, 0xc0, v12, v8
	s_delay_alu instid0(VALU_DEP_2) | instskip(NEXT) | instid1(VALU_DEP_3)
	v_add_co_u32 v24, vcc_lo, s12, v0
	v_add_co_ci_u32_e32 v25, vcc_lo, s13, v1, vcc_lo
	v_sub_co_u32 v0, vcc_lo, v4, s17
	v_subrev_co_ci_u32_e32 v1, vcc_lo, 0, v5, vcc_lo
	v_sub_co_u32 v2, vcc_lo, v6, s17
	v_add_co_u32 v26, s12, s12, v9
	v_subrev_co_ci_u32_e32 v3, vcc_lo, 0, v7, vcc_lo
	v_add_co_ci_u32_e64 v27, null, s13, 0, s12
	s_mov_b32 s12, 0
	s_cselect_b32 s13, 1, 2
	s_branch .LBB49_12
.LBB49_11:                              ;   in Loop: Header=BB49_12 Depth=1
	s_or_b32 exec_lo, exec_lo, s1
	s_add_i32 s12, s12, 8
	s_delay_alu instid0(SALU_CYCLE_1)
	s_cmp_lt_i32 s12, s22
	s_cbranch_scc0 .LBB49_34
.LBB49_12:                              ; =>This Loop Header: Depth=1
                                        ;     Child Loop BB49_15 Depth 2
                                        ;       Child Loop BB49_21 Depth 3
	v_or_b32_e32 v4, s12, v18
	v_dual_mov_b32 v29, 0 :: v_dual_mov_b32 v30, 0
	s_delay_alu instid0(VALU_DEP_2)
	v_ashrrev_i32_e32 v5, 31, v4
	s_and_saveexec_b32 s16, s0
	s_cbranch_execz .LBB49_23
; %bb.13:                               ;   in Loop: Header=BB49_12 Depth=1
	s_delay_alu instid0(VALU_DEP_1) | instskip(SKIP_4) | instid1(VALU_DEP_4)
	v_lshlrev_b64 v[6:7], 3, v[4:5]
	v_cmp_gt_i32_e32 vcc_lo, s22, v4
	v_mov_b32_e32 v29, 0
	s_mov_b32 s18, 0
	v_mov_b32_e32 v30, 0
	v_add_co_u32 v31, s1, s10, v6
	s_delay_alu instid0(VALU_DEP_1)
	v_add_co_ci_u32_e64 v32, s1, s11, v7, s1
	v_dual_mov_b32 v7, v1 :: v_dual_mov_b32 v6, v0
	s_branch .LBB49_15
.LBB49_14:                              ;   in Loop: Header=BB49_15 Depth=2
	s_or_b32 exec_lo, exec_lo, s19
	v_add_co_u32 v6, s1, v6, 8
	s_delay_alu instid0(VALU_DEP_1) | instskip(NEXT) | instid1(VALU_DEP_1)
	v_add_co_ci_u32_e64 v7, s1, 0, v7, s1
	v_cmp_ge_i64_e64 s1, v[6:7], v[2:3]
	s_delay_alu instid0(VALU_DEP_1) | instskip(NEXT) | instid1(SALU_CYCLE_1)
	s_or_b32 s18, s1, s18
	s_and_not1_b32 exec_lo, exec_lo, s18
	s_cbranch_execz .LBB49_22
.LBB49_15:                              ;   Parent Loop BB49_12 Depth=1
                                        ; =>  This Loop Header: Depth=2
                                        ;       Child Loop BB49_21 Depth 3
	s_delay_alu instid0(VALU_DEP_1) | instskip(NEXT) | instid1(VALU_DEP_1)
	v_add_co_u32 v10, s1, v6, v18
	v_add_co_ci_u32_e64 v11, s1, 0, v7, s1
                                        ; implicit-def: $sgpr20
	s_delay_alu instid0(VALU_DEP_1) | instskip(NEXT) | instid1(VALU_DEP_1)
	v_cmp_ge_i64_e64 s1, v[10:11], v[2:3]
	s_and_saveexec_b32 s19, s1
	s_delay_alu instid0(SALU_CYCLE_1)
	s_xor_b32 s1, exec_lo, s19
	s_cbranch_execz .LBB49_17
; %bb.16:                               ;   in Loop: Header=BB49_15 Depth=2
	s_mov_b32 s20, 0
	ds_store_b32 v22, v19
                                        ; implicit-def: $vgpr10_vgpr11
.LBB49_17:                              ;   in Loop: Header=BB49_15 Depth=2
	s_or_saveexec_b32 s19, s1
	v_dual_mov_b32 v8, s20 :: v_dual_mov_b32 v9, s20
	v_dual_mov_b32 v12, s20 :: v_dual_mov_b32 v13, s20
	s_xor_b32 exec_lo, exec_lo, s19
	s_cbranch_execz .LBB49_19
; %bb.18:                               ;   in Loop: Header=BB49_15 Depth=2
	v_lshlrev_b64 v[8:9], 2, v[10:11]
	s_delay_alu instid0(VALU_DEP_1) | instskip(NEXT) | instid1(VALU_DEP_2)
	v_or_b32_e32 v11, 0, v9
	v_or_b32_e32 v10, v8, v28
	v_add_co_u32 v8, s1, s6, v8
	s_delay_alu instid0(VALU_DEP_1) | instskip(NEXT) | instid1(VALU_DEP_4)
	v_add_co_ci_u32_e64 v9, s1, s7, v9, s1
	v_or_b32_e32 v13, 0, v11
	s_delay_alu instid0(VALU_DEP_4) | instskip(SKIP_4) | instid1(VALU_DEP_1)
	v_or_b32_e32 v12, s13, v10
	v_lshlrev_b64 v[10:11], 3, v[10:11]
	global_load_b32 v33, v[8:9], off
	v_lshlrev_b64 v[8:9], 3, v[12:13]
	v_add_co_u32 v10, s1, s8, v10
	v_add_co_ci_u32_e64 v11, s1, s9, v11, s1
	s_delay_alu instid0(VALU_DEP_3) | instskip(NEXT) | instid1(VALU_DEP_1)
	v_add_co_u32 v12, s1, s8, v8
	v_add_co_ci_u32_e64 v13, s1, s9, v9, s1
	s_clause 0x1
	global_load_b64 v[8:9], v[10:11], off
	global_load_b64 v[12:13], v[12:13], off
	s_waitcnt vmcnt(2)
	v_subrev_nc_u32_e32 v10, s17, v33
	s_delay_alu instid0(VALU_DEP_1)
	v_lshlrev_b32_e32 v10, 1, v10
	ds_store_b32 v22, v10
.LBB49_19:                              ;   in Loop: Header=BB49_15 Depth=2
	s_or_b32 exec_lo, exec_lo, s19
	s_waitcnt vmcnt(0)
	ds_store_2addr_b64 v23, v[8:9], v[12:13] offset1:1
	s_waitcnt lgkmcnt(0)
	s_waitcnt_vscnt null, 0x0
	s_barrier
	buffer_gl0_inv
	s_and_saveexec_b32 s19, vcc_lo
	s_cbranch_execz .LBB49_14
; %bb.20:                               ;   in Loop: Header=BB49_15 Depth=2
	v_mov_b32_e32 v8, v21
	s_mov_b32 s20, 0
.LBB49_21:                              ;   Parent Loop BB49_12 Depth=1
                                        ;     Parent Loop BB49_15 Depth=2
                                        ; =>    This Inner Loop Header: Depth=3
	s_delay_alu instid0(SALU_CYCLE_1) | instskip(SKIP_1) | instid1(SALU_CYCLE_1)
	v_add_nc_u32_e32 v9, s20, v20
	s_add_i32 s20, s20, 8
	s_cmp_lg_u32 s20, 32
	ds_load_b64 v[9:10], v9
	s_waitcnt lgkmcnt(0)
	v_ashrrev_i32_e32 v13, 31, v9
	v_mul_lo_u32 v37, v9, s3
	v_mad_u64_u32 v[11:12], null, v9, s2, 0
	v_ashrrev_i32_e32 v36, 31, v10
	s_delay_alu instid0(VALU_DEP_4) | instskip(SKIP_2) | instid1(VALU_DEP_4)
	v_mul_lo_u32 v13, v13, s2
	v_mul_lo_u32 v38, v10, s3
	v_mad_u64_u32 v[33:34], null, v10, s2, 0
	v_mul_lo_u32 v42, v36, s2
	v_add_nc_u32_e32 v35, 1, v9
	v_add3_u32 v12, v12, v37, v13
	s_delay_alu instid0(VALU_DEP_2) | instskip(SKIP_2) | instid1(VALU_DEP_4)
	v_ashrrev_i32_e32 v40, 31, v35
	v_mul_lo_u32 v41, v35, s3
	v_add3_u32 v34, v34, v38, v42
	v_lshlrev_b64 v[11:12], 3, v[11:12]
	s_delay_alu instid0(VALU_DEP_1) | instskip(NEXT) | instid1(VALU_DEP_1)
	v_add_co_u32 v11, s1, v31, v11
	v_add_co_ci_u32_e64 v12, s1, v32, v12, s1
	global_load_b64 v[37:38], v[11:12], off
	v_add_nc_u32_e32 v39, 1, v10
	v_mad_u64_u32 v[9:10], null, v35, s2, 0
	s_delay_alu instid0(VALU_DEP_2) | instskip(SKIP_3) | instid1(VALU_DEP_4)
	v_ashrrev_i32_e32 v43, 31, v39
	v_mul_lo_u32 v44, v39, s3
	v_mad_u64_u32 v[35:36], null, v39, s2, 0
	v_mul_lo_u32 v39, v40, s2
	v_mul_lo_u32 v40, v43, s2
	s_delay_alu instid0(VALU_DEP_2) | instskip(NEXT) | instid1(VALU_DEP_2)
	v_add3_u32 v10, v10, v41, v39
	v_add3_u32 v36, v36, v44, v40
	s_delay_alu instid0(VALU_DEP_2) | instskip(NEXT) | instid1(VALU_DEP_1)
	v_lshlrev_b64 v[9:10], 3, v[9:10]
	v_add_co_u32 v9, s1, v31, v9
	s_delay_alu instid0(VALU_DEP_1) | instskip(SKIP_2) | instid1(VALU_DEP_1)
	v_add_co_ci_u32_e64 v10, s1, v32, v10, s1
	global_load_b64 v[39:40], v[9:10], off
	v_lshlrev_b64 v[11:12], 3, v[33:34]
	v_add_co_u32 v9, s1, v31, v11
	s_delay_alu instid0(VALU_DEP_1) | instskip(SKIP_3) | instid1(VALU_DEP_1)
	v_add_co_ci_u32_e64 v10, s1, v32, v12, s1
	v_lshlrev_b64 v[11:12], 3, v[35:36]
	global_load_b64 v[41:42], v[9:10], off
	v_add_co_u32 v9, s1, v31, v11
	v_add_co_ci_u32_e64 v10, s1, v32, v12, s1
	global_load_b64 v[43:44], v[9:10], off
	ds_load_b128 v[9:12], v8
	ds_load_2addr_b64 v[33:36], v8 offset0:3 offset1:4
	v_add_nc_u32_e32 v8, 48, v8
	s_waitcnt vmcnt(3) lgkmcnt(1)
	v_fmac_f32_e32 v30, v9, v37
	v_fmac_f32_e32 v29, v10, v37
	s_delay_alu instid0(VALU_DEP_2) | instskip(SKIP_1) | instid1(VALU_DEP_1)
	v_fma_f32 v10, -v10, v38, v30
	s_waitcnt vmcnt(2)
	v_dual_fmac_f32 v29, v9, v38 :: v_dual_fmac_f32 v10, v11, v39
	s_delay_alu instid0(VALU_DEP_1) | instskip(NEXT) | instid1(VALU_DEP_2)
	v_fmac_f32_e32 v29, v12, v39
	v_fma_f32 v9, -v12, v40, v10
	s_delay_alu instid0(VALU_DEP_2) | instskip(SKIP_1) | instid1(VALU_DEP_2)
	v_fmac_f32_e32 v29, v11, v40
	s_waitcnt vmcnt(1) lgkmcnt(0)
	v_fmac_f32_e32 v9, v33, v41
	s_delay_alu instid0(VALU_DEP_2) | instskip(NEXT) | instid1(VALU_DEP_2)
	v_fmac_f32_e32 v29, v34, v41
	v_fma_f32 v9, -v34, v42, v9
	s_delay_alu instid0(VALU_DEP_2) | instskip(SKIP_1) | instid1(VALU_DEP_2)
	v_fmac_f32_e32 v29, v33, v42
	s_waitcnt vmcnt(0)
	v_fmac_f32_e32 v9, v35, v43
	s_delay_alu instid0(VALU_DEP_2) | instskip(NEXT) | instid1(VALU_DEP_2)
	v_fmac_f32_e32 v29, v36, v43
	v_fma_f32 v30, -v36, v44, v9
	s_delay_alu instid0(VALU_DEP_2)
	v_fmac_f32_e32 v29, v35, v44
	s_cbranch_scc1 .LBB49_21
	s_branch .LBB49_14
.LBB49_22:                              ;   in Loop: Header=BB49_12 Depth=1
	s_or_b32 exec_lo, exec_lo, s18
.LBB49_23:                              ;   in Loop: Header=BB49_12 Depth=1
	s_delay_alu instid0(SALU_CYCLE_1) | instskip(NEXT) | instid1(SALU_CYCLE_1)
	s_or_b32 exec_lo, exec_lo, s16
	s_mov_b32 s1, exec_lo
	v_cmpx_gt_i32_e64 s22, v4
	s_cbranch_execz .LBB49_11
; %bb.24:                               ;   in Loop: Header=BB49_12 Depth=1
	s_and_saveexec_b32 s16, s4
	s_delay_alu instid0(SALU_CYCLE_1)
	s_xor_b32 s16, exec_lo, s16
	s_cbranch_execz .LBB49_29
; %bb.25:                               ;   in Loop: Header=BB49_12 Depth=1
	s_and_b32 vcc_lo, exec_lo, s5
	s_mov_b32 s18, -1
	s_cbranch_vccz .LBB49_27
; %bb.26:                               ;   in Loop: Header=BB49_12 Depth=1
	v_lshlrev_b64 v[6:7], 3, v[4:5]
	v_mul_f32_e64 v10, v29, -v15
	s_mov_b32 s18, 0
	s_delay_alu instid0(VALU_DEP_2) | instskip(NEXT) | instid1(VALU_DEP_3)
	v_add_co_u32 v6, vcc_lo, v24, v6
	v_add_co_ci_u32_e32 v7, vcc_lo, v25, v7, vcc_lo
	global_load_b64 v[8:9], v[6:7], off
	v_fmac_f32_e32 v10, v14, v30
	s_waitcnt vmcnt(0)
	s_delay_alu instid0(VALU_DEP_1) | instskip(NEXT) | instid1(VALU_DEP_1)
	v_dual_mul_f32 v11, v29, v14 :: v_dual_fmac_f32 v10, v16, v8
	v_fmac_f32_e32 v11, v15, v30
	s_delay_alu instid0(VALU_DEP_2) | instskip(NEXT) | instid1(VALU_DEP_2)
	v_fma_f32 v10, -v17, v9, v10
	v_fmac_f32_e32 v11, v17, v8
	s_delay_alu instid0(VALU_DEP_1)
	v_fmac_f32_e32 v11, v16, v9
	global_store_b64 v[6:7], v[10:11], off
.LBB49_27:                              ;   in Loop: Header=BB49_12 Depth=1
	s_and_not1_b32 vcc_lo, exec_lo, s18
	s_cbranch_vccnz .LBB49_29
; %bb.28:                               ;   in Loop: Header=BB49_12 Depth=1
	v_mul_lo_u32 v7, v5, s14
	v_mul_lo_u32 v8, v4, s15
	v_mad_u64_u32 v[5:6], null, v4, s14, 0
	v_mul_f32_e32 v9, v29, v14
	s_delay_alu instid0(VALU_DEP_1) | instskip(NEXT) | instid1(VALU_DEP_3)
	v_fmac_f32_e32 v9, v15, v30
	v_add3_u32 v6, v6, v8, v7
	v_mul_f32_e64 v8, v29, -v15
                                        ; implicit-def: $vgpr29
	s_delay_alu instid0(VALU_DEP_2) | instskip(NEXT) | instid1(VALU_DEP_1)
	v_lshlrev_b64 v[4:5], 3, v[5:6]
	v_add_co_u32 v4, vcc_lo, v26, v4
	s_delay_alu instid0(VALU_DEP_2) | instskip(SKIP_4) | instid1(VALU_DEP_2)
	v_add_co_ci_u32_e32 v5, vcc_lo, v27, v5, vcc_lo
	global_load_b64 v[6:7], v[4:5], off
	s_waitcnt vmcnt(0)
	v_fmac_f32_e32 v9, v17, v6
	v_fmac_f32_e32 v8, v14, v30
                                        ; implicit-def: $vgpr30
	v_fmac_f32_e32 v9, v16, v7
	s_delay_alu instid0(VALU_DEP_2) | instskip(NEXT) | instid1(VALU_DEP_1)
	v_fmac_f32_e32 v8, v16, v6
	v_fma_f32 v8, -v17, v7, v8
	global_store_b64 v[4:5], v[8:9], off
                                        ; implicit-def: $vgpr4
.LBB49_29:                              ;   in Loop: Header=BB49_12 Depth=1
	s_and_not1_saveexec_b32 s16, s16
	s_cbranch_execz .LBB49_11
; %bb.30:                               ;   in Loop: Header=BB49_12 Depth=1
	v_mul_f32_e64 v6, v29, -v15
	v_mul_f32_e32 v7, v29, v14
	s_and_b32 vcc_lo, exec_lo, s5
	s_mov_b32 s16, -1
	s_delay_alu instid0(VALU_DEP_2) | instskip(NEXT) | instid1(VALU_DEP_2)
	v_fmac_f32_e32 v6, v14, v30
	v_fmac_f32_e32 v7, v15, v30
	s_cbranch_vccz .LBB49_32
; %bb.31:                               ;   in Loop: Header=BB49_12 Depth=1
	v_lshlrev_b64 v[8:9], 3, v[4:5]
	s_mov_b32 s16, 0
	s_delay_alu instid0(VALU_DEP_1) | instskip(NEXT) | instid1(VALU_DEP_2)
	v_add_co_u32 v8, vcc_lo, v24, v8
	v_add_co_ci_u32_e32 v9, vcc_lo, v25, v9, vcc_lo
	global_store_b64 v[8:9], v[6:7], off
.LBB49_32:                              ;   in Loop: Header=BB49_12 Depth=1
	s_and_not1_b32 vcc_lo, exec_lo, s16
	s_cbranch_vccnz .LBB49_11
; %bb.33:                               ;   in Loop: Header=BB49_12 Depth=1
	v_mul_lo_u32 v5, v5, s14
	v_mul_lo_u32 v10, v4, s15
	v_mad_u64_u32 v[8:9], null, v4, s14, 0
	s_delay_alu instid0(VALU_DEP_1) | instskip(NEXT) | instid1(VALU_DEP_1)
	v_add3_u32 v9, v9, v10, v5
	v_lshlrev_b64 v[4:5], 3, v[8:9]
	s_delay_alu instid0(VALU_DEP_1) | instskip(NEXT) | instid1(VALU_DEP_2)
	v_add_co_u32 v4, vcc_lo, v26, v4
	v_add_co_ci_u32_e32 v5, vcc_lo, v27, v5, vcc_lo
	global_store_b64 v[4:5], v[6:7], off
	s_branch .LBB49_11
.LBB49_34:
	s_nop 0
	s_sendmsg sendmsg(MSG_DEALLOC_VGPRS)
	s_endpgm
.LBB49_35:
	v_dual_mov_b32 v1, s4 :: v_dual_mov_b32 v2, s5
	flat_load_b32 v14, v[1:2]
	v_cndmask_b32_e64 v1, 0, 1, s6
	v_mov_b32_e32 v15, s5
	s_and_not1_b32 vcc_lo, exec_lo, s6
	s_cbranch_vccnz .LBB49_2
.LBB49_36:
	v_dual_mov_b32 v2, s4 :: v_dual_mov_b32 v3, s5
	flat_load_b32 v15, v[2:3] offset:4
	v_cmp_ne_u32_e32 vcc_lo, 1, v1
	v_mov_b32_e32 v16, s2
	s_cbranch_vccnz .LBB49_3
.LBB49_37:
	v_dual_mov_b32 v2, s2 :: v_dual_mov_b32 v3, s3
	flat_load_b32 v16, v[2:3]
	v_cmp_ne_u32_e32 vcc_lo, 1, v1
	v_mov_b32_e32 v17, s3
	s_cbranch_vccz .LBB49_4
	s_branch .LBB49_5
	.section	.rodata,"a",@progbits
	.p2align	6, 0x0
	.amdhsa_kernel _ZN9rocsparseL29bsrmmnt_small_blockdim_kernelILj64ELj8ELj2Eli21rocsparse_complex_numIfES2_S2_S2_EEv20rocsparse_direction_T3_S4_llNS_24const_host_device_scalarIT7_EEPKT2_PKS4_PKT4_PKT5_llS7_PT6_ll16rocsparse_order_21rocsparse_index_base_b
		.amdhsa_group_segment_fixed_size 1792
		.amdhsa_private_segment_fixed_size 0
		.amdhsa_kernarg_size 392
		.amdhsa_user_sgpr_count 15
		.amdhsa_user_sgpr_dispatch_ptr 0
		.amdhsa_user_sgpr_queue_ptr 0
		.amdhsa_user_sgpr_kernarg_segment_ptr 1
		.amdhsa_user_sgpr_dispatch_id 0
		.amdhsa_user_sgpr_private_segment_size 0
		.amdhsa_wavefront_size32 1
		.amdhsa_uses_dynamic_stack 0
		.amdhsa_enable_private_segment 0
		.amdhsa_system_sgpr_workgroup_id_x 1
		.amdhsa_system_sgpr_workgroup_id_y 0
		.amdhsa_system_sgpr_workgroup_id_z 0
		.amdhsa_system_sgpr_workgroup_info 0
		.amdhsa_system_vgpr_workitem_id 0
		.amdhsa_next_free_vgpr 45
		.amdhsa_next_free_sgpr 24
		.amdhsa_reserve_vcc 1
		.amdhsa_float_round_mode_32 0
		.amdhsa_float_round_mode_16_64 0
		.amdhsa_float_denorm_mode_32 3
		.amdhsa_float_denorm_mode_16_64 3
		.amdhsa_dx10_clamp 1
		.amdhsa_ieee_mode 1
		.amdhsa_fp16_overflow 0
		.amdhsa_workgroup_processor_mode 1
		.amdhsa_memory_ordered 1
		.amdhsa_forward_progress 0
		.amdhsa_shared_vgpr_count 0
		.amdhsa_exception_fp_ieee_invalid_op 0
		.amdhsa_exception_fp_denorm_src 0
		.amdhsa_exception_fp_ieee_div_zero 0
		.amdhsa_exception_fp_ieee_overflow 0
		.amdhsa_exception_fp_ieee_underflow 0
		.amdhsa_exception_fp_ieee_inexact 0
		.amdhsa_exception_int_div_zero 0
	.end_amdhsa_kernel
	.section	.text._ZN9rocsparseL29bsrmmnt_small_blockdim_kernelILj64ELj8ELj2Eli21rocsparse_complex_numIfES2_S2_S2_EEv20rocsparse_direction_T3_S4_llNS_24const_host_device_scalarIT7_EEPKT2_PKS4_PKT4_PKT5_llS7_PT6_ll16rocsparse_order_21rocsparse_index_base_b,"axG",@progbits,_ZN9rocsparseL29bsrmmnt_small_blockdim_kernelILj64ELj8ELj2Eli21rocsparse_complex_numIfES2_S2_S2_EEv20rocsparse_direction_T3_S4_llNS_24const_host_device_scalarIT7_EEPKT2_PKS4_PKT4_PKT5_llS7_PT6_ll16rocsparse_order_21rocsparse_index_base_b,comdat
.Lfunc_end49:
	.size	_ZN9rocsparseL29bsrmmnt_small_blockdim_kernelILj64ELj8ELj2Eli21rocsparse_complex_numIfES2_S2_S2_EEv20rocsparse_direction_T3_S4_llNS_24const_host_device_scalarIT7_EEPKT2_PKS4_PKT4_PKT5_llS7_PT6_ll16rocsparse_order_21rocsparse_index_base_b, .Lfunc_end49-_ZN9rocsparseL29bsrmmnt_small_blockdim_kernelILj64ELj8ELj2Eli21rocsparse_complex_numIfES2_S2_S2_EEv20rocsparse_direction_T3_S4_llNS_24const_host_device_scalarIT7_EEPKT2_PKS4_PKT4_PKT5_llS7_PT6_ll16rocsparse_order_21rocsparse_index_base_b
                                        ; -- End function
	.section	.AMDGPU.csdata,"",@progbits
; Kernel info:
; codeLenInByte = 2056
; NumSgprs: 26
; NumVgprs: 45
; ScratchSize: 0
; MemoryBound: 0
; FloatMode: 240
; IeeeMode: 1
; LDSByteSize: 1792 bytes/workgroup (compile time only)
; SGPRBlocks: 3
; VGPRBlocks: 5
; NumSGPRsForWavesPerEU: 26
; NumVGPRsForWavesPerEU: 45
; Occupancy: 16
; WaveLimiterHint : 1
; COMPUTE_PGM_RSRC2:SCRATCH_EN: 0
; COMPUTE_PGM_RSRC2:USER_SGPR: 15
; COMPUTE_PGM_RSRC2:TRAP_HANDLER: 0
; COMPUTE_PGM_RSRC2:TGID_X_EN: 1
; COMPUTE_PGM_RSRC2:TGID_Y_EN: 0
; COMPUTE_PGM_RSRC2:TGID_Z_EN: 0
; COMPUTE_PGM_RSRC2:TIDIG_COMP_CNT: 0
	.section	.text._ZN9rocsparseL29bsrmmnt_small_blockdim_kernelILj64ELj16ELj2Eli21rocsparse_complex_numIfES2_S2_S2_EEv20rocsparse_direction_T3_S4_llNS_24const_host_device_scalarIT7_EEPKT2_PKS4_PKT4_PKT5_llS7_PT6_ll16rocsparse_order_21rocsparse_index_base_b,"axG",@progbits,_ZN9rocsparseL29bsrmmnt_small_blockdim_kernelILj64ELj16ELj2Eli21rocsparse_complex_numIfES2_S2_S2_EEv20rocsparse_direction_T3_S4_llNS_24const_host_device_scalarIT7_EEPKT2_PKS4_PKT4_PKT5_llS7_PT6_ll16rocsparse_order_21rocsparse_index_base_b,comdat
	.globl	_ZN9rocsparseL29bsrmmnt_small_blockdim_kernelILj64ELj16ELj2Eli21rocsparse_complex_numIfES2_S2_S2_EEv20rocsparse_direction_T3_S4_llNS_24const_host_device_scalarIT7_EEPKT2_PKS4_PKT4_PKT5_llS7_PT6_ll16rocsparse_order_21rocsparse_index_base_b ; -- Begin function _ZN9rocsparseL29bsrmmnt_small_blockdim_kernelILj64ELj16ELj2Eli21rocsparse_complex_numIfES2_S2_S2_EEv20rocsparse_direction_T3_S4_llNS_24const_host_device_scalarIT7_EEPKT2_PKS4_PKT4_PKT5_llS7_PT6_ll16rocsparse_order_21rocsparse_index_base_b
	.p2align	8
	.type	_ZN9rocsparseL29bsrmmnt_small_blockdim_kernelILj64ELj16ELj2Eli21rocsparse_complex_numIfES2_S2_S2_EEv20rocsparse_direction_T3_S4_llNS_24const_host_device_scalarIT7_EEPKT2_PKS4_PKT4_PKT5_llS7_PT6_ll16rocsparse_order_21rocsparse_index_base_b,@function
_ZN9rocsparseL29bsrmmnt_small_blockdim_kernelILj64ELj16ELj2Eli21rocsparse_complex_numIfES2_S2_S2_EEv20rocsparse_direction_T3_S4_llNS_24const_host_device_scalarIT7_EEPKT2_PKS4_PKT4_PKT5_llS7_PT6_ll16rocsparse_order_21rocsparse_index_base_b: ; @_ZN9rocsparseL29bsrmmnt_small_blockdim_kernelILj64ELj16ELj2Eli21rocsparse_complex_numIfES2_S2_S2_EEv20rocsparse_direction_T3_S4_llNS_24const_host_device_scalarIT7_EEPKT2_PKS4_PKT4_PKT5_llS7_PT6_ll16rocsparse_order_21rocsparse_index_base_b
; %bb.0:
	s_clause 0x2
	s_load_b128 s[16:19], s[0:1], 0x78
	s_load_b64 s[4:5], s[0:1], 0x20
	s_load_b64 s[2:3], s[0:1], 0x58
	s_waitcnt lgkmcnt(0)
	s_bitcmp1_b32 s18, 0
	v_mov_b32_e32 v14, s4
	s_cselect_b32 s6, -1, 0
	s_delay_alu instid0(SALU_CYCLE_1)
	s_and_b32 vcc_lo, exec_lo, s6
	s_xor_b32 s6, s6, -1
	s_cbranch_vccz .LBB50_35
; %bb.1:
	v_cndmask_b32_e64 v1, 0, 1, s6
	v_mov_b32_e32 v15, s5
	s_and_not1_b32 vcc_lo, exec_lo, s6
	s_cbranch_vccz .LBB50_36
.LBB50_2:
	s_delay_alu instid0(VALU_DEP_2)
	v_cmp_ne_u32_e32 vcc_lo, 1, v1
	v_mov_b32_e32 v16, s2
	s_cbranch_vccz .LBB50_37
.LBB50_3:
	v_cmp_ne_u32_e32 vcc_lo, 1, v1
	v_mov_b32_e32 v17, s3
	s_cbranch_vccnz .LBB50_5
.LBB50_4:
	v_dual_mov_b32 v1, s2 :: v_dual_mov_b32 v2, s3
	flat_load_b32 v17, v[1:2] offset:4
.LBB50_5:
	s_waitcnt vmcnt(0) lgkmcnt(0)
	v_cmp_eq_f32_e32 vcc_lo, 0, v14
	v_cmp_eq_f32_e64 s2, 0, v15
	s_delay_alu instid0(VALU_DEP_1)
	s_and_b32 s4, vcc_lo, s2
	s_mov_b32 s2, -1
	s_and_saveexec_b32 s3, s4
; %bb.6:
	v_cmp_neq_f32_e32 vcc_lo, 1.0, v16
	v_cmp_neq_f32_e64 s2, 0, v17
	s_delay_alu instid0(VALU_DEP_1) | instskip(NEXT) | instid1(SALU_CYCLE_1)
	s_or_b32 s2, vcc_lo, s2
	s_or_not1_b32 s2, s2, exec_lo
; %bb.7:
	s_or_b32 exec_lo, exec_lo, s3
	s_and_saveexec_b32 s3, s2
	s_cbranch_execz .LBB50_34
; %bb.8:
	s_clause 0x1
	s_load_b32 s2, s[0:1], 0x94
	s_load_b128 s[20:23], s[0:1], 0x0
	s_waitcnt lgkmcnt(0)
	s_and_b32 s2, s2, 0xffff
	s_delay_alu instid0(SALU_CYCLE_1) | instskip(NEXT) | instid1(VALU_DEP_1)
	v_mad_u64_u32 v[1:2], null, s15, s2, v[0:1]
	v_lshrrev_b32_e32 v2, 5, v1
	s_delay_alu instid0(VALU_DEP_1)
	v_cmp_gt_i32_e32 vcc_lo, s21, v2
	s_and_b32 exec_lo, exec_lo, vcc_lo
	s_cbranch_execz .LBB50_34
; %bb.9:
	s_cmp_lt_i32 s22, 1
	s_cbranch_scc1 .LBB50_34
; %bb.10:
	s_load_b256 s[4:11], s[0:1], 0x28
	v_dual_mov_b32 v19, 0 :: v_dual_lshlrev_b32 v2, 3, v2
	s_clause 0x1
	s_load_b128 s[12:15], s[0:1], 0x60
	s_load_b64 s[2:3], s[0:1], 0x48
	v_lshrrev_b32_e32 v10, 4, v1
	v_lshrrev_b32_e32 v11, 4, v0
	v_cmp_neq_f32_e32 vcc_lo, 0, v16
	v_cmp_neq_f32_e64 s0, 0, v17
	s_delay_alu instid0(VALU_DEP_3)
	v_lshl_or_b32 v20, v11, 6, 0x600
	v_mul_u32_u24_e32 v21, 0x180, v11
	s_waitcnt lgkmcnt(0)
	global_load_b128 v[4:7], v2, s[4:5]
	s_or_b32 s4, vcc_lo, s0
	s_cmp_lg_u32 s16, 1
	v_mad_u64_u32 v[2:3], null, v10, s14, 0
	s_cselect_b32 s5, -1, 0
	s_cmp_eq_u32 s20, 0
	s_cselect_b32 s1, -1, 0
	s_delay_alu instid0(SALU_CYCLE_1) | instskip(SKIP_2) | instid1(VALU_DEP_2)
	v_cndmask_b32_e64 v12, 0, 1, s1
	s_and_b32 s1, s1, exec_lo
	s_waitcnt vmcnt(0)
	v_mad_u64_u32 v[8:9], null, v10, s15, v[3:4]
	v_and_b32_e32 v18, 15, v0
	v_bfe_u32 v9, v1, 4, 1
	v_cmp_lt_i64_e64 s0, v[4:5], v[6:7]
	s_delay_alu instid0(VALU_DEP_4) | instskip(NEXT) | instid1(VALU_DEP_4)
	v_mov_b32_e32 v3, v8
	v_mul_u32_u24_e32 v0, 3, v18
	v_lshlrev_b32_e32 v8, 3, v10
	v_lshl_or_b32 v22, v18, 2, v20
	v_lshlrev_b32_e32 v28, v12, v9
	s_delay_alu instid0(VALU_DEP_4) | instskip(SKIP_1) | instid1(VALU_DEP_2)
	v_lshlrev_b32_e32 v10, 3, v0
	v_lshlrev_b64 v[0:1], 3, v[2:3]
	v_mad_u32_u24 v23, 0x180, v11, v10
	s_delay_alu instid0(VALU_DEP_2) | instskip(NEXT) | instid1(VALU_DEP_3)
	v_add_co_u32 v24, vcc_lo, s12, v0
	v_add_co_ci_u32_e32 v25, vcc_lo, s13, v1, vcc_lo
	v_sub_co_u32 v0, vcc_lo, v4, s17
	v_subrev_co_ci_u32_e32 v1, vcc_lo, 0, v5, vcc_lo
	v_sub_co_u32 v2, vcc_lo, v6, s17
	v_add_co_u32 v26, s12, s12, v8
	v_subrev_co_ci_u32_e32 v3, vcc_lo, 0, v7, vcc_lo
	v_add_co_ci_u32_e64 v27, null, s13, 0, s12
	s_mov_b32 s12, 0
	s_cselect_b32 s13, 1, 2
	s_branch .LBB50_12
.LBB50_11:                              ;   in Loop: Header=BB50_12 Depth=1
	s_or_b32 exec_lo, exec_lo, s1
	s_add_i32 s12, s12, 16
	s_delay_alu instid0(SALU_CYCLE_1)
	s_cmp_lt_i32 s12, s22
	s_cbranch_scc0 .LBB50_34
.LBB50_12:                              ; =>This Loop Header: Depth=1
                                        ;     Child Loop BB50_15 Depth 2
                                        ;       Child Loop BB50_21 Depth 3
	v_or_b32_e32 v4, s12, v18
	v_dual_mov_b32 v29, 0 :: v_dual_mov_b32 v30, 0
	s_delay_alu instid0(VALU_DEP_2)
	v_ashrrev_i32_e32 v5, 31, v4
	s_and_saveexec_b32 s16, s0
	s_cbranch_execz .LBB50_23
; %bb.13:                               ;   in Loop: Header=BB50_12 Depth=1
	s_delay_alu instid0(VALU_DEP_1) | instskip(SKIP_4) | instid1(VALU_DEP_4)
	v_lshlrev_b64 v[6:7], 3, v[4:5]
	v_cmp_gt_i32_e32 vcc_lo, s22, v4
	v_mov_b32_e32 v29, 0
	s_mov_b32 s18, 0
	v_mov_b32_e32 v30, 0
	v_add_co_u32 v31, s1, s10, v6
	s_delay_alu instid0(VALU_DEP_1)
	v_add_co_ci_u32_e64 v32, s1, s11, v7, s1
	v_dual_mov_b32 v7, v1 :: v_dual_mov_b32 v6, v0
	s_branch .LBB50_15
.LBB50_14:                              ;   in Loop: Header=BB50_15 Depth=2
	s_or_b32 exec_lo, exec_lo, s19
	v_add_co_u32 v6, s1, v6, 16
	s_delay_alu instid0(VALU_DEP_1) | instskip(NEXT) | instid1(VALU_DEP_1)
	v_add_co_ci_u32_e64 v7, s1, 0, v7, s1
	v_cmp_ge_i64_e64 s1, v[6:7], v[2:3]
	s_delay_alu instid0(VALU_DEP_1) | instskip(NEXT) | instid1(SALU_CYCLE_1)
	s_or_b32 s18, s1, s18
	s_and_not1_b32 exec_lo, exec_lo, s18
	s_cbranch_execz .LBB50_22
.LBB50_15:                              ;   Parent Loop BB50_12 Depth=1
                                        ; =>  This Loop Header: Depth=2
                                        ;       Child Loop BB50_21 Depth 3
	s_delay_alu instid0(VALU_DEP_1) | instskip(NEXT) | instid1(VALU_DEP_1)
	v_add_co_u32 v10, s1, v6, v18
	v_add_co_ci_u32_e64 v11, s1, 0, v7, s1
                                        ; implicit-def: $sgpr20
	s_delay_alu instid0(VALU_DEP_1) | instskip(NEXT) | instid1(VALU_DEP_1)
	v_cmp_ge_i64_e64 s1, v[10:11], v[2:3]
	s_and_saveexec_b32 s19, s1
	s_delay_alu instid0(SALU_CYCLE_1)
	s_xor_b32 s1, exec_lo, s19
	s_cbranch_execz .LBB50_17
; %bb.16:                               ;   in Loop: Header=BB50_15 Depth=2
	s_mov_b32 s20, 0
	ds_store_b32 v22, v19
                                        ; implicit-def: $vgpr10_vgpr11
.LBB50_17:                              ;   in Loop: Header=BB50_15 Depth=2
	s_or_saveexec_b32 s19, s1
	v_dual_mov_b32 v8, s20 :: v_dual_mov_b32 v9, s20
	v_dual_mov_b32 v12, s20 :: v_dual_mov_b32 v13, s20
	s_xor_b32 exec_lo, exec_lo, s19
	s_cbranch_execz .LBB50_19
; %bb.18:                               ;   in Loop: Header=BB50_15 Depth=2
	v_lshlrev_b64 v[8:9], 2, v[10:11]
	s_delay_alu instid0(VALU_DEP_1) | instskip(NEXT) | instid1(VALU_DEP_2)
	v_or_b32_e32 v11, 0, v9
	v_or_b32_e32 v10, v8, v28
	v_add_co_u32 v8, s1, s6, v8
	s_delay_alu instid0(VALU_DEP_1) | instskip(NEXT) | instid1(VALU_DEP_4)
	v_add_co_ci_u32_e64 v9, s1, s7, v9, s1
	v_or_b32_e32 v13, 0, v11
	s_delay_alu instid0(VALU_DEP_4) | instskip(SKIP_4) | instid1(VALU_DEP_1)
	v_or_b32_e32 v12, s13, v10
	v_lshlrev_b64 v[10:11], 3, v[10:11]
	global_load_b32 v33, v[8:9], off
	v_lshlrev_b64 v[8:9], 3, v[12:13]
	v_add_co_u32 v10, s1, s8, v10
	v_add_co_ci_u32_e64 v11, s1, s9, v11, s1
	s_delay_alu instid0(VALU_DEP_3) | instskip(NEXT) | instid1(VALU_DEP_1)
	v_add_co_u32 v12, s1, s8, v8
	v_add_co_ci_u32_e64 v13, s1, s9, v9, s1
	s_clause 0x1
	global_load_b64 v[8:9], v[10:11], off
	global_load_b64 v[12:13], v[12:13], off
	s_waitcnt vmcnt(2)
	v_subrev_nc_u32_e32 v10, s17, v33
	s_delay_alu instid0(VALU_DEP_1)
	v_lshlrev_b32_e32 v10, 1, v10
	ds_store_b32 v22, v10
.LBB50_19:                              ;   in Loop: Header=BB50_15 Depth=2
	s_or_b32 exec_lo, exec_lo, s19
	s_waitcnt vmcnt(0)
	ds_store_2addr_b64 v23, v[8:9], v[12:13] offset1:1
	s_waitcnt lgkmcnt(0)
	s_waitcnt_vscnt null, 0x0
	s_barrier
	buffer_gl0_inv
	s_and_saveexec_b32 s19, vcc_lo
	s_cbranch_execz .LBB50_14
; %bb.20:                               ;   in Loop: Header=BB50_15 Depth=2
	v_mov_b32_e32 v8, v21
	s_mov_b32 s20, 0
.LBB50_21:                              ;   Parent Loop BB50_12 Depth=1
                                        ;     Parent Loop BB50_15 Depth=2
                                        ; =>    This Inner Loop Header: Depth=3
	s_delay_alu instid0(SALU_CYCLE_1) | instskip(SKIP_1) | instid1(SALU_CYCLE_1)
	v_add_nc_u32_e32 v9, s20, v20
	s_add_i32 s20, s20, 8
	s_cmp_lg_u32 s20, 64
	ds_load_b64 v[9:10], v9
	s_waitcnt lgkmcnt(0)
	v_ashrrev_i32_e32 v13, 31, v9
	v_mul_lo_u32 v37, v9, s3
	v_mad_u64_u32 v[11:12], null, v9, s2, 0
	v_ashrrev_i32_e32 v36, 31, v10
	s_delay_alu instid0(VALU_DEP_4) | instskip(SKIP_2) | instid1(VALU_DEP_4)
	v_mul_lo_u32 v13, v13, s2
	v_mul_lo_u32 v38, v10, s3
	v_mad_u64_u32 v[33:34], null, v10, s2, 0
	v_mul_lo_u32 v42, v36, s2
	v_add_nc_u32_e32 v35, 1, v9
	v_add3_u32 v12, v12, v37, v13
	s_delay_alu instid0(VALU_DEP_2) | instskip(SKIP_2) | instid1(VALU_DEP_4)
	v_ashrrev_i32_e32 v40, 31, v35
	v_mul_lo_u32 v41, v35, s3
	v_add3_u32 v34, v34, v38, v42
	v_lshlrev_b64 v[11:12], 3, v[11:12]
	s_delay_alu instid0(VALU_DEP_1) | instskip(NEXT) | instid1(VALU_DEP_1)
	v_add_co_u32 v11, s1, v31, v11
	v_add_co_ci_u32_e64 v12, s1, v32, v12, s1
	global_load_b64 v[37:38], v[11:12], off
	v_add_nc_u32_e32 v39, 1, v10
	v_mad_u64_u32 v[9:10], null, v35, s2, 0
	s_delay_alu instid0(VALU_DEP_2) | instskip(SKIP_3) | instid1(VALU_DEP_4)
	v_ashrrev_i32_e32 v43, 31, v39
	v_mul_lo_u32 v44, v39, s3
	v_mad_u64_u32 v[35:36], null, v39, s2, 0
	v_mul_lo_u32 v39, v40, s2
	v_mul_lo_u32 v40, v43, s2
	s_delay_alu instid0(VALU_DEP_2) | instskip(NEXT) | instid1(VALU_DEP_2)
	v_add3_u32 v10, v10, v41, v39
	v_add3_u32 v36, v36, v44, v40
	s_delay_alu instid0(VALU_DEP_2) | instskip(NEXT) | instid1(VALU_DEP_1)
	v_lshlrev_b64 v[9:10], 3, v[9:10]
	v_add_co_u32 v9, s1, v31, v9
	s_delay_alu instid0(VALU_DEP_1) | instskip(SKIP_2) | instid1(VALU_DEP_1)
	v_add_co_ci_u32_e64 v10, s1, v32, v10, s1
	global_load_b64 v[39:40], v[9:10], off
	v_lshlrev_b64 v[11:12], 3, v[33:34]
	v_add_co_u32 v9, s1, v31, v11
	s_delay_alu instid0(VALU_DEP_1) | instskip(SKIP_3) | instid1(VALU_DEP_1)
	v_add_co_ci_u32_e64 v10, s1, v32, v12, s1
	v_lshlrev_b64 v[11:12], 3, v[35:36]
	global_load_b64 v[41:42], v[9:10], off
	v_add_co_u32 v9, s1, v31, v11
	v_add_co_ci_u32_e64 v10, s1, v32, v12, s1
	global_load_b64 v[43:44], v[9:10], off
	ds_load_b128 v[9:12], v8
	ds_load_2addr_b64 v[33:36], v8 offset0:3 offset1:4
	v_add_nc_u32_e32 v8, 48, v8
	s_waitcnt vmcnt(3) lgkmcnt(1)
	v_fmac_f32_e32 v30, v9, v37
	v_fmac_f32_e32 v29, v10, v37
	s_delay_alu instid0(VALU_DEP_2) | instskip(SKIP_1) | instid1(VALU_DEP_1)
	v_fma_f32 v10, -v10, v38, v30
	s_waitcnt vmcnt(2)
	v_dual_fmac_f32 v29, v9, v38 :: v_dual_fmac_f32 v10, v11, v39
	s_delay_alu instid0(VALU_DEP_1) | instskip(NEXT) | instid1(VALU_DEP_2)
	v_fmac_f32_e32 v29, v12, v39
	v_fma_f32 v9, -v12, v40, v10
	s_delay_alu instid0(VALU_DEP_2) | instskip(SKIP_1) | instid1(VALU_DEP_2)
	v_fmac_f32_e32 v29, v11, v40
	s_waitcnt vmcnt(1) lgkmcnt(0)
	v_fmac_f32_e32 v9, v33, v41
	s_delay_alu instid0(VALU_DEP_2) | instskip(NEXT) | instid1(VALU_DEP_2)
	v_fmac_f32_e32 v29, v34, v41
	v_fma_f32 v9, -v34, v42, v9
	s_delay_alu instid0(VALU_DEP_2) | instskip(SKIP_1) | instid1(VALU_DEP_2)
	v_fmac_f32_e32 v29, v33, v42
	s_waitcnt vmcnt(0)
	v_fmac_f32_e32 v9, v35, v43
	s_delay_alu instid0(VALU_DEP_2) | instskip(NEXT) | instid1(VALU_DEP_2)
	v_fmac_f32_e32 v29, v36, v43
	v_fma_f32 v30, -v36, v44, v9
	s_delay_alu instid0(VALU_DEP_2)
	v_fmac_f32_e32 v29, v35, v44
	s_cbranch_scc1 .LBB50_21
	s_branch .LBB50_14
.LBB50_22:                              ;   in Loop: Header=BB50_12 Depth=1
	s_or_b32 exec_lo, exec_lo, s18
.LBB50_23:                              ;   in Loop: Header=BB50_12 Depth=1
	s_delay_alu instid0(SALU_CYCLE_1) | instskip(NEXT) | instid1(SALU_CYCLE_1)
	s_or_b32 exec_lo, exec_lo, s16
	s_mov_b32 s1, exec_lo
	v_cmpx_gt_i32_e64 s22, v4
	s_cbranch_execz .LBB50_11
; %bb.24:                               ;   in Loop: Header=BB50_12 Depth=1
	s_and_saveexec_b32 s16, s4
	s_delay_alu instid0(SALU_CYCLE_1)
	s_xor_b32 s16, exec_lo, s16
	s_cbranch_execz .LBB50_29
; %bb.25:                               ;   in Loop: Header=BB50_12 Depth=1
	s_and_b32 vcc_lo, exec_lo, s5
	s_mov_b32 s18, -1
	s_cbranch_vccz .LBB50_27
; %bb.26:                               ;   in Loop: Header=BB50_12 Depth=1
	v_lshlrev_b64 v[6:7], 3, v[4:5]
	v_mul_f32_e64 v10, v29, -v15
	s_mov_b32 s18, 0
	s_delay_alu instid0(VALU_DEP_2) | instskip(NEXT) | instid1(VALU_DEP_3)
	v_add_co_u32 v6, vcc_lo, v24, v6
	v_add_co_ci_u32_e32 v7, vcc_lo, v25, v7, vcc_lo
	global_load_b64 v[8:9], v[6:7], off
	v_fmac_f32_e32 v10, v14, v30
	s_waitcnt vmcnt(0)
	s_delay_alu instid0(VALU_DEP_1) | instskip(NEXT) | instid1(VALU_DEP_1)
	v_dual_mul_f32 v11, v29, v14 :: v_dual_fmac_f32 v10, v16, v8
	v_fmac_f32_e32 v11, v15, v30
	s_delay_alu instid0(VALU_DEP_2) | instskip(NEXT) | instid1(VALU_DEP_2)
	v_fma_f32 v10, -v17, v9, v10
	v_fmac_f32_e32 v11, v17, v8
	s_delay_alu instid0(VALU_DEP_1)
	v_fmac_f32_e32 v11, v16, v9
	global_store_b64 v[6:7], v[10:11], off
.LBB50_27:                              ;   in Loop: Header=BB50_12 Depth=1
	s_and_not1_b32 vcc_lo, exec_lo, s18
	s_cbranch_vccnz .LBB50_29
; %bb.28:                               ;   in Loop: Header=BB50_12 Depth=1
	v_mul_lo_u32 v7, v5, s14
	v_mul_lo_u32 v8, v4, s15
	v_mad_u64_u32 v[5:6], null, v4, s14, 0
	v_mul_f32_e32 v9, v29, v14
	s_delay_alu instid0(VALU_DEP_1) | instskip(NEXT) | instid1(VALU_DEP_3)
	v_fmac_f32_e32 v9, v15, v30
	v_add3_u32 v6, v6, v8, v7
	v_mul_f32_e64 v8, v29, -v15
                                        ; implicit-def: $vgpr29
	s_delay_alu instid0(VALU_DEP_2) | instskip(NEXT) | instid1(VALU_DEP_1)
	v_lshlrev_b64 v[4:5], 3, v[5:6]
	v_add_co_u32 v4, vcc_lo, v26, v4
	s_delay_alu instid0(VALU_DEP_2) | instskip(SKIP_4) | instid1(VALU_DEP_2)
	v_add_co_ci_u32_e32 v5, vcc_lo, v27, v5, vcc_lo
	global_load_b64 v[6:7], v[4:5], off
	s_waitcnt vmcnt(0)
	v_fmac_f32_e32 v9, v17, v6
	v_fmac_f32_e32 v8, v14, v30
                                        ; implicit-def: $vgpr30
	v_fmac_f32_e32 v9, v16, v7
	s_delay_alu instid0(VALU_DEP_2) | instskip(NEXT) | instid1(VALU_DEP_1)
	v_fmac_f32_e32 v8, v16, v6
	v_fma_f32 v8, -v17, v7, v8
	global_store_b64 v[4:5], v[8:9], off
                                        ; implicit-def: $vgpr4
.LBB50_29:                              ;   in Loop: Header=BB50_12 Depth=1
	s_and_not1_saveexec_b32 s16, s16
	s_cbranch_execz .LBB50_11
; %bb.30:                               ;   in Loop: Header=BB50_12 Depth=1
	v_mul_f32_e64 v6, v29, -v15
	v_mul_f32_e32 v7, v29, v14
	s_and_b32 vcc_lo, exec_lo, s5
	s_mov_b32 s16, -1
	s_delay_alu instid0(VALU_DEP_2) | instskip(NEXT) | instid1(VALU_DEP_2)
	v_fmac_f32_e32 v6, v14, v30
	v_fmac_f32_e32 v7, v15, v30
	s_cbranch_vccz .LBB50_32
; %bb.31:                               ;   in Loop: Header=BB50_12 Depth=1
	v_lshlrev_b64 v[8:9], 3, v[4:5]
	s_mov_b32 s16, 0
	s_delay_alu instid0(VALU_DEP_1) | instskip(NEXT) | instid1(VALU_DEP_2)
	v_add_co_u32 v8, vcc_lo, v24, v8
	v_add_co_ci_u32_e32 v9, vcc_lo, v25, v9, vcc_lo
	global_store_b64 v[8:9], v[6:7], off
.LBB50_32:                              ;   in Loop: Header=BB50_12 Depth=1
	s_and_not1_b32 vcc_lo, exec_lo, s16
	s_cbranch_vccnz .LBB50_11
; %bb.33:                               ;   in Loop: Header=BB50_12 Depth=1
	v_mul_lo_u32 v5, v5, s14
	v_mul_lo_u32 v10, v4, s15
	v_mad_u64_u32 v[8:9], null, v4, s14, 0
	s_delay_alu instid0(VALU_DEP_1) | instskip(NEXT) | instid1(VALU_DEP_1)
	v_add3_u32 v9, v9, v10, v5
	v_lshlrev_b64 v[4:5], 3, v[8:9]
	s_delay_alu instid0(VALU_DEP_1) | instskip(NEXT) | instid1(VALU_DEP_2)
	v_add_co_u32 v4, vcc_lo, v26, v4
	v_add_co_ci_u32_e32 v5, vcc_lo, v27, v5, vcc_lo
	global_store_b64 v[4:5], v[6:7], off
	s_branch .LBB50_11
.LBB50_34:
	s_nop 0
	s_sendmsg sendmsg(MSG_DEALLOC_VGPRS)
	s_endpgm
.LBB50_35:
	v_dual_mov_b32 v1, s4 :: v_dual_mov_b32 v2, s5
	flat_load_b32 v14, v[1:2]
	v_cndmask_b32_e64 v1, 0, 1, s6
	v_mov_b32_e32 v15, s5
	s_and_not1_b32 vcc_lo, exec_lo, s6
	s_cbranch_vccnz .LBB50_2
.LBB50_36:
	v_dual_mov_b32 v2, s4 :: v_dual_mov_b32 v3, s5
	flat_load_b32 v15, v[2:3] offset:4
	v_cmp_ne_u32_e32 vcc_lo, 1, v1
	v_mov_b32_e32 v16, s2
	s_cbranch_vccnz .LBB50_3
.LBB50_37:
	v_dual_mov_b32 v2, s2 :: v_dual_mov_b32 v3, s3
	flat_load_b32 v16, v[2:3]
	v_cmp_ne_u32_e32 vcc_lo, 1, v1
	v_mov_b32_e32 v17, s3
	s_cbranch_vccz .LBB50_4
	s_branch .LBB50_5
	.section	.rodata,"a",@progbits
	.p2align	6, 0x0
	.amdhsa_kernel _ZN9rocsparseL29bsrmmnt_small_blockdim_kernelILj64ELj16ELj2Eli21rocsparse_complex_numIfES2_S2_S2_EEv20rocsparse_direction_T3_S4_llNS_24const_host_device_scalarIT7_EEPKT2_PKS4_PKT4_PKT5_llS7_PT6_ll16rocsparse_order_21rocsparse_index_base_b
		.amdhsa_group_segment_fixed_size 1792
		.amdhsa_private_segment_fixed_size 0
		.amdhsa_kernarg_size 392
		.amdhsa_user_sgpr_count 15
		.amdhsa_user_sgpr_dispatch_ptr 0
		.amdhsa_user_sgpr_queue_ptr 0
		.amdhsa_user_sgpr_kernarg_segment_ptr 1
		.amdhsa_user_sgpr_dispatch_id 0
		.amdhsa_user_sgpr_private_segment_size 0
		.amdhsa_wavefront_size32 1
		.amdhsa_uses_dynamic_stack 0
		.amdhsa_enable_private_segment 0
		.amdhsa_system_sgpr_workgroup_id_x 1
		.amdhsa_system_sgpr_workgroup_id_y 0
		.amdhsa_system_sgpr_workgroup_id_z 0
		.amdhsa_system_sgpr_workgroup_info 0
		.amdhsa_system_vgpr_workitem_id 0
		.amdhsa_next_free_vgpr 45
		.amdhsa_next_free_sgpr 24
		.amdhsa_reserve_vcc 1
		.amdhsa_float_round_mode_32 0
		.amdhsa_float_round_mode_16_64 0
		.amdhsa_float_denorm_mode_32 3
		.amdhsa_float_denorm_mode_16_64 3
		.amdhsa_dx10_clamp 1
		.amdhsa_ieee_mode 1
		.amdhsa_fp16_overflow 0
		.amdhsa_workgroup_processor_mode 1
		.amdhsa_memory_ordered 1
		.amdhsa_forward_progress 0
		.amdhsa_shared_vgpr_count 0
		.amdhsa_exception_fp_ieee_invalid_op 0
		.amdhsa_exception_fp_denorm_src 0
		.amdhsa_exception_fp_ieee_div_zero 0
		.amdhsa_exception_fp_ieee_overflow 0
		.amdhsa_exception_fp_ieee_underflow 0
		.amdhsa_exception_fp_ieee_inexact 0
		.amdhsa_exception_int_div_zero 0
	.end_amdhsa_kernel
	.section	.text._ZN9rocsparseL29bsrmmnt_small_blockdim_kernelILj64ELj16ELj2Eli21rocsparse_complex_numIfES2_S2_S2_EEv20rocsparse_direction_T3_S4_llNS_24const_host_device_scalarIT7_EEPKT2_PKS4_PKT4_PKT5_llS7_PT6_ll16rocsparse_order_21rocsparse_index_base_b,"axG",@progbits,_ZN9rocsparseL29bsrmmnt_small_blockdim_kernelILj64ELj16ELj2Eli21rocsparse_complex_numIfES2_S2_S2_EEv20rocsparse_direction_T3_S4_llNS_24const_host_device_scalarIT7_EEPKT2_PKS4_PKT4_PKT5_llS7_PT6_ll16rocsparse_order_21rocsparse_index_base_b,comdat
.Lfunc_end50:
	.size	_ZN9rocsparseL29bsrmmnt_small_blockdim_kernelILj64ELj16ELj2Eli21rocsparse_complex_numIfES2_S2_S2_EEv20rocsparse_direction_T3_S4_llNS_24const_host_device_scalarIT7_EEPKT2_PKS4_PKT4_PKT5_llS7_PT6_ll16rocsparse_order_21rocsparse_index_base_b, .Lfunc_end50-_ZN9rocsparseL29bsrmmnt_small_blockdim_kernelILj64ELj16ELj2Eli21rocsparse_complex_numIfES2_S2_S2_EEv20rocsparse_direction_T3_S4_llNS_24const_host_device_scalarIT7_EEPKT2_PKS4_PKT4_PKT5_llS7_PT6_ll16rocsparse_order_21rocsparse_index_base_b
                                        ; -- End function
	.section	.AMDGPU.csdata,"",@progbits
; Kernel info:
; codeLenInByte = 2060
; NumSgprs: 26
; NumVgprs: 45
; ScratchSize: 0
; MemoryBound: 0
; FloatMode: 240
; IeeeMode: 1
; LDSByteSize: 1792 bytes/workgroup (compile time only)
; SGPRBlocks: 3
; VGPRBlocks: 5
; NumSGPRsForWavesPerEU: 26
; NumVGPRsForWavesPerEU: 45
; Occupancy: 16
; WaveLimiterHint : 1
; COMPUTE_PGM_RSRC2:SCRATCH_EN: 0
; COMPUTE_PGM_RSRC2:USER_SGPR: 15
; COMPUTE_PGM_RSRC2:TRAP_HANDLER: 0
; COMPUTE_PGM_RSRC2:TGID_X_EN: 1
; COMPUTE_PGM_RSRC2:TGID_Y_EN: 0
; COMPUTE_PGM_RSRC2:TGID_Z_EN: 0
; COMPUTE_PGM_RSRC2:TIDIG_COMP_CNT: 0
	.section	.text._ZN9rocsparseL29bsrmmnt_small_blockdim_kernelILj64ELj32ELj2Eli21rocsparse_complex_numIfES2_S2_S2_EEv20rocsparse_direction_T3_S4_llNS_24const_host_device_scalarIT7_EEPKT2_PKS4_PKT4_PKT5_llS7_PT6_ll16rocsparse_order_21rocsparse_index_base_b,"axG",@progbits,_ZN9rocsparseL29bsrmmnt_small_blockdim_kernelILj64ELj32ELj2Eli21rocsparse_complex_numIfES2_S2_S2_EEv20rocsparse_direction_T3_S4_llNS_24const_host_device_scalarIT7_EEPKT2_PKS4_PKT4_PKT5_llS7_PT6_ll16rocsparse_order_21rocsparse_index_base_b,comdat
	.globl	_ZN9rocsparseL29bsrmmnt_small_blockdim_kernelILj64ELj32ELj2Eli21rocsparse_complex_numIfES2_S2_S2_EEv20rocsparse_direction_T3_S4_llNS_24const_host_device_scalarIT7_EEPKT2_PKS4_PKT4_PKT5_llS7_PT6_ll16rocsparse_order_21rocsparse_index_base_b ; -- Begin function _ZN9rocsparseL29bsrmmnt_small_blockdim_kernelILj64ELj32ELj2Eli21rocsparse_complex_numIfES2_S2_S2_EEv20rocsparse_direction_T3_S4_llNS_24const_host_device_scalarIT7_EEPKT2_PKS4_PKT4_PKT5_llS7_PT6_ll16rocsparse_order_21rocsparse_index_base_b
	.p2align	8
	.type	_ZN9rocsparseL29bsrmmnt_small_blockdim_kernelILj64ELj32ELj2Eli21rocsparse_complex_numIfES2_S2_S2_EEv20rocsparse_direction_T3_S4_llNS_24const_host_device_scalarIT7_EEPKT2_PKS4_PKT4_PKT5_llS7_PT6_ll16rocsparse_order_21rocsparse_index_base_b,@function
_ZN9rocsparseL29bsrmmnt_small_blockdim_kernelILj64ELj32ELj2Eli21rocsparse_complex_numIfES2_S2_S2_EEv20rocsparse_direction_T3_S4_llNS_24const_host_device_scalarIT7_EEPKT2_PKS4_PKT4_PKT5_llS7_PT6_ll16rocsparse_order_21rocsparse_index_base_b: ; @_ZN9rocsparseL29bsrmmnt_small_blockdim_kernelILj64ELj32ELj2Eli21rocsparse_complex_numIfES2_S2_S2_EEv20rocsparse_direction_T3_S4_llNS_24const_host_device_scalarIT7_EEPKT2_PKS4_PKT4_PKT5_llS7_PT6_ll16rocsparse_order_21rocsparse_index_base_b
; %bb.0:
	s_clause 0x2
	s_load_b128 s[16:19], s[0:1], 0x78
	s_load_b64 s[4:5], s[0:1], 0x20
	s_load_b64 s[2:3], s[0:1], 0x58
	s_waitcnt lgkmcnt(0)
	s_bitcmp1_b32 s18, 0
	v_mov_b32_e32 v14, s4
	s_cselect_b32 s6, -1, 0
	s_delay_alu instid0(SALU_CYCLE_1)
	s_and_b32 vcc_lo, exec_lo, s6
	s_xor_b32 s6, s6, -1
	s_cbranch_vccz .LBB51_35
; %bb.1:
	v_cndmask_b32_e64 v1, 0, 1, s6
	v_mov_b32_e32 v15, s5
	s_and_not1_b32 vcc_lo, exec_lo, s6
	s_cbranch_vccz .LBB51_36
.LBB51_2:
	s_delay_alu instid0(VALU_DEP_2)
	v_cmp_ne_u32_e32 vcc_lo, 1, v1
	v_mov_b32_e32 v16, s2
	s_cbranch_vccz .LBB51_37
.LBB51_3:
	v_cmp_ne_u32_e32 vcc_lo, 1, v1
	v_mov_b32_e32 v17, s3
	s_cbranch_vccnz .LBB51_5
.LBB51_4:
	v_dual_mov_b32 v1, s2 :: v_dual_mov_b32 v2, s3
	flat_load_b32 v17, v[1:2] offset:4
.LBB51_5:
	s_waitcnt vmcnt(0) lgkmcnt(0)
	v_cmp_eq_f32_e32 vcc_lo, 0, v14
	v_cmp_eq_f32_e64 s2, 0, v15
	s_delay_alu instid0(VALU_DEP_1)
	s_and_b32 s4, vcc_lo, s2
	s_mov_b32 s2, -1
	s_and_saveexec_b32 s3, s4
; %bb.6:
	v_cmp_neq_f32_e32 vcc_lo, 1.0, v16
	v_cmp_neq_f32_e64 s2, 0, v17
	s_delay_alu instid0(VALU_DEP_1) | instskip(NEXT) | instid1(SALU_CYCLE_1)
	s_or_b32 s2, vcc_lo, s2
	s_or_not1_b32 s2, s2, exec_lo
; %bb.7:
	s_or_b32 exec_lo, exec_lo, s3
	s_and_saveexec_b32 s3, s2
	s_cbranch_execz .LBB51_34
; %bb.8:
	s_clause 0x1
	s_load_b32 s2, s[0:1], 0x94
	s_load_b128 s[20:23], s[0:1], 0x0
	s_waitcnt lgkmcnt(0)
	s_and_b32 s2, s2, 0xffff
	s_delay_alu instid0(SALU_CYCLE_1) | instskip(NEXT) | instid1(VALU_DEP_1)
	v_mad_u64_u32 v[1:2], null, s15, s2, v[0:1]
	v_lshrrev_b32_e32 v2, 6, v1
	s_delay_alu instid0(VALU_DEP_1)
	v_cmp_gt_i32_e32 vcc_lo, s21, v2
	s_and_b32 exec_lo, exec_lo, vcc_lo
	s_cbranch_execz .LBB51_34
; %bb.9:
	s_cmp_lt_i32 s22, 1
	s_cbranch_scc1 .LBB51_34
; %bb.10:
	s_load_b256 s[4:11], s[0:1], 0x28
	v_dual_mov_b32 v19, 0 :: v_dual_lshlrev_b32 v2, 3, v2
	s_clause 0x1
	s_load_b128 s[12:15], s[0:1], 0x60
	s_load_b64 s[2:3], s[0:1], 0x48
	v_lshrrev_b32_e32 v10, 5, v1
	v_lshrrev_b32_e32 v11, 5, v0
	v_cmp_neq_f32_e32 vcc_lo, 0, v16
	v_cmp_neq_f32_e64 s0, 0, v17
	s_delay_alu instid0(VALU_DEP_3)
	v_lshl_or_b32 v20, v11, 7, 0x600
	v_mul_u32_u24_e32 v21, 0x300, v11
	s_waitcnt lgkmcnt(0)
	global_load_b128 v[4:7], v2, s[4:5]
	s_or_b32 s4, vcc_lo, s0
	s_cmp_lg_u32 s16, 1
	v_mad_u64_u32 v[2:3], null, v10, s14, 0
	s_cselect_b32 s5, -1, 0
	s_cmp_eq_u32 s20, 0
	s_cselect_b32 s1, -1, 0
	s_delay_alu instid0(SALU_CYCLE_1) | instskip(SKIP_2) | instid1(VALU_DEP_2)
	v_cndmask_b32_e64 v12, 0, 1, s1
	s_and_b32 s1, s1, exec_lo
	s_waitcnt vmcnt(0)
	v_mad_u64_u32 v[8:9], null, v10, s15, v[3:4]
	v_and_b32_e32 v18, 31, v0
	v_bfe_u32 v9, v1, 5, 1
	v_cmp_lt_i64_e64 s0, v[4:5], v[6:7]
	s_delay_alu instid0(VALU_DEP_4) | instskip(NEXT) | instid1(VALU_DEP_4)
	v_mov_b32_e32 v3, v8
	v_mul_u32_u24_e32 v0, 3, v18
	v_lshlrev_b32_e32 v8, 3, v10
	v_lshl_or_b32 v22, v18, 2, v20
	v_lshlrev_b32_e32 v28, v12, v9
	s_delay_alu instid0(VALU_DEP_4) | instskip(SKIP_1) | instid1(VALU_DEP_2)
	v_lshlrev_b32_e32 v10, 3, v0
	v_lshlrev_b64 v[0:1], 3, v[2:3]
	v_mad_u32_u24 v23, 0x300, v11, v10
	s_delay_alu instid0(VALU_DEP_2) | instskip(NEXT) | instid1(VALU_DEP_3)
	v_add_co_u32 v24, vcc_lo, s12, v0
	v_add_co_ci_u32_e32 v25, vcc_lo, s13, v1, vcc_lo
	v_sub_co_u32 v0, vcc_lo, v4, s17
	v_subrev_co_ci_u32_e32 v1, vcc_lo, 0, v5, vcc_lo
	v_sub_co_u32 v2, vcc_lo, v6, s17
	v_add_co_u32 v26, s12, s12, v8
	v_subrev_co_ci_u32_e32 v3, vcc_lo, 0, v7, vcc_lo
	v_add_co_ci_u32_e64 v27, null, s13, 0, s12
	s_mov_b32 s12, 0
	s_cselect_b32 s13, 1, 2
	s_branch .LBB51_12
.LBB51_11:                              ;   in Loop: Header=BB51_12 Depth=1
	s_or_b32 exec_lo, exec_lo, s1
	s_add_i32 s12, s12, 32
	s_delay_alu instid0(SALU_CYCLE_1)
	s_cmp_lt_i32 s12, s22
	s_cbranch_scc0 .LBB51_34
.LBB51_12:                              ; =>This Loop Header: Depth=1
                                        ;     Child Loop BB51_15 Depth 2
                                        ;       Child Loop BB51_21 Depth 3
	v_or_b32_e32 v4, s12, v18
	v_dual_mov_b32 v29, 0 :: v_dual_mov_b32 v30, 0
	s_delay_alu instid0(VALU_DEP_2)
	v_ashrrev_i32_e32 v5, 31, v4
	s_and_saveexec_b32 s16, s0
	s_cbranch_execz .LBB51_23
; %bb.13:                               ;   in Loop: Header=BB51_12 Depth=1
	s_delay_alu instid0(VALU_DEP_1) | instskip(SKIP_4) | instid1(VALU_DEP_4)
	v_lshlrev_b64 v[6:7], 3, v[4:5]
	v_cmp_gt_i32_e32 vcc_lo, s22, v4
	v_mov_b32_e32 v29, 0
	s_mov_b32 s18, 0
	v_mov_b32_e32 v30, 0
	v_add_co_u32 v31, s1, s10, v6
	s_delay_alu instid0(VALU_DEP_1)
	v_add_co_ci_u32_e64 v32, s1, s11, v7, s1
	v_dual_mov_b32 v7, v1 :: v_dual_mov_b32 v6, v0
	s_branch .LBB51_15
.LBB51_14:                              ;   in Loop: Header=BB51_15 Depth=2
	s_or_b32 exec_lo, exec_lo, s19
	v_add_co_u32 v6, s1, v6, 32
	s_delay_alu instid0(VALU_DEP_1) | instskip(NEXT) | instid1(VALU_DEP_1)
	v_add_co_ci_u32_e64 v7, s1, 0, v7, s1
	v_cmp_ge_i64_e64 s1, v[6:7], v[2:3]
	s_delay_alu instid0(VALU_DEP_1) | instskip(NEXT) | instid1(SALU_CYCLE_1)
	s_or_b32 s18, s1, s18
	s_and_not1_b32 exec_lo, exec_lo, s18
	s_cbranch_execz .LBB51_22
.LBB51_15:                              ;   Parent Loop BB51_12 Depth=1
                                        ; =>  This Loop Header: Depth=2
                                        ;       Child Loop BB51_21 Depth 3
	s_delay_alu instid0(VALU_DEP_1) | instskip(NEXT) | instid1(VALU_DEP_1)
	v_add_co_u32 v10, s1, v6, v18
	v_add_co_ci_u32_e64 v11, s1, 0, v7, s1
                                        ; implicit-def: $sgpr20
	s_delay_alu instid0(VALU_DEP_1) | instskip(NEXT) | instid1(VALU_DEP_1)
	v_cmp_ge_i64_e64 s1, v[10:11], v[2:3]
	s_and_saveexec_b32 s19, s1
	s_delay_alu instid0(SALU_CYCLE_1)
	s_xor_b32 s1, exec_lo, s19
	s_cbranch_execz .LBB51_17
; %bb.16:                               ;   in Loop: Header=BB51_15 Depth=2
	s_mov_b32 s20, 0
	ds_store_b32 v22, v19
                                        ; implicit-def: $vgpr10_vgpr11
.LBB51_17:                              ;   in Loop: Header=BB51_15 Depth=2
	s_or_saveexec_b32 s19, s1
	v_dual_mov_b32 v8, s20 :: v_dual_mov_b32 v9, s20
	v_dual_mov_b32 v12, s20 :: v_dual_mov_b32 v13, s20
	s_xor_b32 exec_lo, exec_lo, s19
	s_cbranch_execz .LBB51_19
; %bb.18:                               ;   in Loop: Header=BB51_15 Depth=2
	v_lshlrev_b64 v[8:9], 2, v[10:11]
	s_delay_alu instid0(VALU_DEP_1) | instskip(NEXT) | instid1(VALU_DEP_2)
	v_or_b32_e32 v11, 0, v9
	v_or_b32_e32 v10, v8, v28
	v_add_co_u32 v8, s1, s6, v8
	s_delay_alu instid0(VALU_DEP_1) | instskip(NEXT) | instid1(VALU_DEP_4)
	v_add_co_ci_u32_e64 v9, s1, s7, v9, s1
	v_or_b32_e32 v13, 0, v11
	s_delay_alu instid0(VALU_DEP_4) | instskip(SKIP_4) | instid1(VALU_DEP_1)
	v_or_b32_e32 v12, s13, v10
	v_lshlrev_b64 v[10:11], 3, v[10:11]
	global_load_b32 v33, v[8:9], off
	v_lshlrev_b64 v[8:9], 3, v[12:13]
	v_add_co_u32 v10, s1, s8, v10
	v_add_co_ci_u32_e64 v11, s1, s9, v11, s1
	s_delay_alu instid0(VALU_DEP_3) | instskip(NEXT) | instid1(VALU_DEP_1)
	v_add_co_u32 v12, s1, s8, v8
	v_add_co_ci_u32_e64 v13, s1, s9, v9, s1
	s_clause 0x1
	global_load_b64 v[8:9], v[10:11], off
	global_load_b64 v[12:13], v[12:13], off
	s_waitcnt vmcnt(2)
	v_subrev_nc_u32_e32 v10, s17, v33
	s_delay_alu instid0(VALU_DEP_1)
	v_lshlrev_b32_e32 v10, 1, v10
	ds_store_b32 v22, v10
.LBB51_19:                              ;   in Loop: Header=BB51_15 Depth=2
	s_or_b32 exec_lo, exec_lo, s19
	s_waitcnt vmcnt(0)
	ds_store_2addr_b64 v23, v[8:9], v[12:13] offset1:1
	s_waitcnt lgkmcnt(0)
	s_waitcnt_vscnt null, 0x0
	s_barrier
	buffer_gl0_inv
	s_and_saveexec_b32 s19, vcc_lo
	s_cbranch_execz .LBB51_14
; %bb.20:                               ;   in Loop: Header=BB51_15 Depth=2
	v_mov_b32_e32 v8, v21
	s_mov_b32 s20, 0
.LBB51_21:                              ;   Parent Loop BB51_12 Depth=1
                                        ;     Parent Loop BB51_15 Depth=2
                                        ; =>    This Inner Loop Header: Depth=3
	s_delay_alu instid0(SALU_CYCLE_1) | instskip(SKIP_1) | instid1(SALU_CYCLE_1)
	v_add_nc_u32_e32 v9, s20, v20
	s_add_i32 s20, s20, 8
	s_cmpk_lg_i32 s20, 0x80
	ds_load_b64 v[9:10], v9
	s_waitcnt lgkmcnt(0)
	v_ashrrev_i32_e32 v13, 31, v9
	v_mul_lo_u32 v37, v9, s3
	v_mad_u64_u32 v[11:12], null, v9, s2, 0
	v_ashrrev_i32_e32 v36, 31, v10
	s_delay_alu instid0(VALU_DEP_4) | instskip(SKIP_2) | instid1(VALU_DEP_4)
	v_mul_lo_u32 v13, v13, s2
	v_mul_lo_u32 v38, v10, s3
	v_mad_u64_u32 v[33:34], null, v10, s2, 0
	v_mul_lo_u32 v42, v36, s2
	v_add_nc_u32_e32 v35, 1, v9
	v_add3_u32 v12, v12, v37, v13
	s_delay_alu instid0(VALU_DEP_2) | instskip(SKIP_2) | instid1(VALU_DEP_4)
	v_ashrrev_i32_e32 v40, 31, v35
	v_mul_lo_u32 v41, v35, s3
	v_add3_u32 v34, v34, v38, v42
	v_lshlrev_b64 v[11:12], 3, v[11:12]
	s_delay_alu instid0(VALU_DEP_1) | instskip(NEXT) | instid1(VALU_DEP_1)
	v_add_co_u32 v11, s1, v31, v11
	v_add_co_ci_u32_e64 v12, s1, v32, v12, s1
	global_load_b64 v[37:38], v[11:12], off
	v_add_nc_u32_e32 v39, 1, v10
	v_mad_u64_u32 v[9:10], null, v35, s2, 0
	s_delay_alu instid0(VALU_DEP_2) | instskip(SKIP_3) | instid1(VALU_DEP_4)
	v_ashrrev_i32_e32 v43, 31, v39
	v_mul_lo_u32 v44, v39, s3
	v_mad_u64_u32 v[35:36], null, v39, s2, 0
	v_mul_lo_u32 v39, v40, s2
	v_mul_lo_u32 v40, v43, s2
	s_delay_alu instid0(VALU_DEP_2) | instskip(NEXT) | instid1(VALU_DEP_2)
	v_add3_u32 v10, v10, v41, v39
	v_add3_u32 v36, v36, v44, v40
	s_delay_alu instid0(VALU_DEP_2) | instskip(NEXT) | instid1(VALU_DEP_1)
	v_lshlrev_b64 v[9:10], 3, v[9:10]
	v_add_co_u32 v9, s1, v31, v9
	s_delay_alu instid0(VALU_DEP_1) | instskip(SKIP_2) | instid1(VALU_DEP_1)
	v_add_co_ci_u32_e64 v10, s1, v32, v10, s1
	global_load_b64 v[39:40], v[9:10], off
	v_lshlrev_b64 v[11:12], 3, v[33:34]
	v_add_co_u32 v9, s1, v31, v11
	s_delay_alu instid0(VALU_DEP_1) | instskip(SKIP_3) | instid1(VALU_DEP_1)
	v_add_co_ci_u32_e64 v10, s1, v32, v12, s1
	v_lshlrev_b64 v[11:12], 3, v[35:36]
	global_load_b64 v[41:42], v[9:10], off
	v_add_co_u32 v9, s1, v31, v11
	v_add_co_ci_u32_e64 v10, s1, v32, v12, s1
	global_load_b64 v[43:44], v[9:10], off
	ds_load_b128 v[9:12], v8
	ds_load_2addr_b64 v[33:36], v8 offset0:3 offset1:4
	v_add_nc_u32_e32 v8, 48, v8
	s_waitcnt vmcnt(3) lgkmcnt(1)
	v_fmac_f32_e32 v30, v9, v37
	v_fmac_f32_e32 v29, v10, v37
	s_delay_alu instid0(VALU_DEP_2) | instskip(SKIP_1) | instid1(VALU_DEP_1)
	v_fma_f32 v10, -v10, v38, v30
	s_waitcnt vmcnt(2)
	v_dual_fmac_f32 v29, v9, v38 :: v_dual_fmac_f32 v10, v11, v39
	s_delay_alu instid0(VALU_DEP_1) | instskip(NEXT) | instid1(VALU_DEP_2)
	v_fmac_f32_e32 v29, v12, v39
	v_fma_f32 v9, -v12, v40, v10
	s_delay_alu instid0(VALU_DEP_2) | instskip(SKIP_1) | instid1(VALU_DEP_2)
	v_fmac_f32_e32 v29, v11, v40
	s_waitcnt vmcnt(1) lgkmcnt(0)
	v_fmac_f32_e32 v9, v33, v41
	s_delay_alu instid0(VALU_DEP_2) | instskip(NEXT) | instid1(VALU_DEP_2)
	v_fmac_f32_e32 v29, v34, v41
	v_fma_f32 v9, -v34, v42, v9
	s_delay_alu instid0(VALU_DEP_2) | instskip(SKIP_1) | instid1(VALU_DEP_2)
	v_fmac_f32_e32 v29, v33, v42
	s_waitcnt vmcnt(0)
	v_fmac_f32_e32 v9, v35, v43
	s_delay_alu instid0(VALU_DEP_2) | instskip(NEXT) | instid1(VALU_DEP_2)
	v_fmac_f32_e32 v29, v36, v43
	v_fma_f32 v30, -v36, v44, v9
	s_delay_alu instid0(VALU_DEP_2)
	v_fmac_f32_e32 v29, v35, v44
	s_cbranch_scc1 .LBB51_21
	s_branch .LBB51_14
.LBB51_22:                              ;   in Loop: Header=BB51_12 Depth=1
	s_or_b32 exec_lo, exec_lo, s18
.LBB51_23:                              ;   in Loop: Header=BB51_12 Depth=1
	s_delay_alu instid0(SALU_CYCLE_1) | instskip(NEXT) | instid1(SALU_CYCLE_1)
	s_or_b32 exec_lo, exec_lo, s16
	s_mov_b32 s1, exec_lo
	v_cmpx_gt_i32_e64 s22, v4
	s_cbranch_execz .LBB51_11
; %bb.24:                               ;   in Loop: Header=BB51_12 Depth=1
	s_and_saveexec_b32 s16, s4
	s_delay_alu instid0(SALU_CYCLE_1)
	s_xor_b32 s16, exec_lo, s16
	s_cbranch_execz .LBB51_29
; %bb.25:                               ;   in Loop: Header=BB51_12 Depth=1
	s_and_b32 vcc_lo, exec_lo, s5
	s_mov_b32 s18, -1
	s_cbranch_vccz .LBB51_27
; %bb.26:                               ;   in Loop: Header=BB51_12 Depth=1
	v_lshlrev_b64 v[6:7], 3, v[4:5]
	v_mul_f32_e64 v10, v29, -v15
	s_mov_b32 s18, 0
	s_delay_alu instid0(VALU_DEP_2) | instskip(NEXT) | instid1(VALU_DEP_3)
	v_add_co_u32 v6, vcc_lo, v24, v6
	v_add_co_ci_u32_e32 v7, vcc_lo, v25, v7, vcc_lo
	global_load_b64 v[8:9], v[6:7], off
	v_fmac_f32_e32 v10, v14, v30
	s_waitcnt vmcnt(0)
	s_delay_alu instid0(VALU_DEP_1) | instskip(NEXT) | instid1(VALU_DEP_1)
	v_dual_mul_f32 v11, v29, v14 :: v_dual_fmac_f32 v10, v16, v8
	v_fmac_f32_e32 v11, v15, v30
	s_delay_alu instid0(VALU_DEP_2) | instskip(NEXT) | instid1(VALU_DEP_2)
	v_fma_f32 v10, -v17, v9, v10
	v_fmac_f32_e32 v11, v17, v8
	s_delay_alu instid0(VALU_DEP_1)
	v_fmac_f32_e32 v11, v16, v9
	global_store_b64 v[6:7], v[10:11], off
.LBB51_27:                              ;   in Loop: Header=BB51_12 Depth=1
	s_and_not1_b32 vcc_lo, exec_lo, s18
	s_cbranch_vccnz .LBB51_29
; %bb.28:                               ;   in Loop: Header=BB51_12 Depth=1
	v_mul_lo_u32 v7, v5, s14
	v_mul_lo_u32 v8, v4, s15
	v_mad_u64_u32 v[5:6], null, v4, s14, 0
	v_mul_f32_e32 v9, v29, v14
	s_delay_alu instid0(VALU_DEP_1) | instskip(NEXT) | instid1(VALU_DEP_3)
	v_fmac_f32_e32 v9, v15, v30
	v_add3_u32 v6, v6, v8, v7
	v_mul_f32_e64 v8, v29, -v15
                                        ; implicit-def: $vgpr29
	s_delay_alu instid0(VALU_DEP_2) | instskip(NEXT) | instid1(VALU_DEP_1)
	v_lshlrev_b64 v[4:5], 3, v[5:6]
	v_add_co_u32 v4, vcc_lo, v26, v4
	s_delay_alu instid0(VALU_DEP_2) | instskip(SKIP_4) | instid1(VALU_DEP_2)
	v_add_co_ci_u32_e32 v5, vcc_lo, v27, v5, vcc_lo
	global_load_b64 v[6:7], v[4:5], off
	s_waitcnt vmcnt(0)
	v_fmac_f32_e32 v9, v17, v6
	v_fmac_f32_e32 v8, v14, v30
                                        ; implicit-def: $vgpr30
	v_fmac_f32_e32 v9, v16, v7
	s_delay_alu instid0(VALU_DEP_2) | instskip(NEXT) | instid1(VALU_DEP_1)
	v_fmac_f32_e32 v8, v16, v6
	v_fma_f32 v8, -v17, v7, v8
	global_store_b64 v[4:5], v[8:9], off
                                        ; implicit-def: $vgpr4
.LBB51_29:                              ;   in Loop: Header=BB51_12 Depth=1
	s_and_not1_saveexec_b32 s16, s16
	s_cbranch_execz .LBB51_11
; %bb.30:                               ;   in Loop: Header=BB51_12 Depth=1
	v_mul_f32_e64 v6, v29, -v15
	v_mul_f32_e32 v7, v29, v14
	s_and_b32 vcc_lo, exec_lo, s5
	s_mov_b32 s16, -1
	s_delay_alu instid0(VALU_DEP_2) | instskip(NEXT) | instid1(VALU_DEP_2)
	v_fmac_f32_e32 v6, v14, v30
	v_fmac_f32_e32 v7, v15, v30
	s_cbranch_vccz .LBB51_32
; %bb.31:                               ;   in Loop: Header=BB51_12 Depth=1
	v_lshlrev_b64 v[8:9], 3, v[4:5]
	s_mov_b32 s16, 0
	s_delay_alu instid0(VALU_DEP_1) | instskip(NEXT) | instid1(VALU_DEP_2)
	v_add_co_u32 v8, vcc_lo, v24, v8
	v_add_co_ci_u32_e32 v9, vcc_lo, v25, v9, vcc_lo
	global_store_b64 v[8:9], v[6:7], off
.LBB51_32:                              ;   in Loop: Header=BB51_12 Depth=1
	s_and_not1_b32 vcc_lo, exec_lo, s16
	s_cbranch_vccnz .LBB51_11
; %bb.33:                               ;   in Loop: Header=BB51_12 Depth=1
	v_mul_lo_u32 v5, v5, s14
	v_mul_lo_u32 v10, v4, s15
	v_mad_u64_u32 v[8:9], null, v4, s14, 0
	s_delay_alu instid0(VALU_DEP_1) | instskip(NEXT) | instid1(VALU_DEP_1)
	v_add3_u32 v9, v9, v10, v5
	v_lshlrev_b64 v[4:5], 3, v[8:9]
	s_delay_alu instid0(VALU_DEP_1) | instskip(NEXT) | instid1(VALU_DEP_2)
	v_add_co_u32 v4, vcc_lo, v26, v4
	v_add_co_ci_u32_e32 v5, vcc_lo, v27, v5, vcc_lo
	global_store_b64 v[4:5], v[6:7], off
	s_branch .LBB51_11
.LBB51_34:
	s_nop 0
	s_sendmsg sendmsg(MSG_DEALLOC_VGPRS)
	s_endpgm
.LBB51_35:
	v_dual_mov_b32 v1, s4 :: v_dual_mov_b32 v2, s5
	flat_load_b32 v14, v[1:2]
	v_cndmask_b32_e64 v1, 0, 1, s6
	v_mov_b32_e32 v15, s5
	s_and_not1_b32 vcc_lo, exec_lo, s6
	s_cbranch_vccnz .LBB51_2
.LBB51_36:
	v_dual_mov_b32 v2, s4 :: v_dual_mov_b32 v3, s5
	flat_load_b32 v15, v[2:3] offset:4
	v_cmp_ne_u32_e32 vcc_lo, 1, v1
	v_mov_b32_e32 v16, s2
	s_cbranch_vccnz .LBB51_3
.LBB51_37:
	v_dual_mov_b32 v2, s2 :: v_dual_mov_b32 v3, s3
	flat_load_b32 v16, v[2:3]
	v_cmp_ne_u32_e32 vcc_lo, 1, v1
	v_mov_b32_e32 v17, s3
	s_cbranch_vccz .LBB51_4
	s_branch .LBB51_5
	.section	.rodata,"a",@progbits
	.p2align	6, 0x0
	.amdhsa_kernel _ZN9rocsparseL29bsrmmnt_small_blockdim_kernelILj64ELj32ELj2Eli21rocsparse_complex_numIfES2_S2_S2_EEv20rocsparse_direction_T3_S4_llNS_24const_host_device_scalarIT7_EEPKT2_PKS4_PKT4_PKT5_llS7_PT6_ll16rocsparse_order_21rocsparse_index_base_b
		.amdhsa_group_segment_fixed_size 1792
		.amdhsa_private_segment_fixed_size 0
		.amdhsa_kernarg_size 392
		.amdhsa_user_sgpr_count 15
		.amdhsa_user_sgpr_dispatch_ptr 0
		.amdhsa_user_sgpr_queue_ptr 0
		.amdhsa_user_sgpr_kernarg_segment_ptr 1
		.amdhsa_user_sgpr_dispatch_id 0
		.amdhsa_user_sgpr_private_segment_size 0
		.amdhsa_wavefront_size32 1
		.amdhsa_uses_dynamic_stack 0
		.amdhsa_enable_private_segment 0
		.amdhsa_system_sgpr_workgroup_id_x 1
		.amdhsa_system_sgpr_workgroup_id_y 0
		.amdhsa_system_sgpr_workgroup_id_z 0
		.amdhsa_system_sgpr_workgroup_info 0
		.amdhsa_system_vgpr_workitem_id 0
		.amdhsa_next_free_vgpr 45
		.amdhsa_next_free_sgpr 24
		.amdhsa_reserve_vcc 1
		.amdhsa_float_round_mode_32 0
		.amdhsa_float_round_mode_16_64 0
		.amdhsa_float_denorm_mode_32 3
		.amdhsa_float_denorm_mode_16_64 3
		.amdhsa_dx10_clamp 1
		.amdhsa_ieee_mode 1
		.amdhsa_fp16_overflow 0
		.amdhsa_workgroup_processor_mode 1
		.amdhsa_memory_ordered 1
		.amdhsa_forward_progress 0
		.amdhsa_shared_vgpr_count 0
		.amdhsa_exception_fp_ieee_invalid_op 0
		.amdhsa_exception_fp_denorm_src 0
		.amdhsa_exception_fp_ieee_div_zero 0
		.amdhsa_exception_fp_ieee_overflow 0
		.amdhsa_exception_fp_ieee_underflow 0
		.amdhsa_exception_fp_ieee_inexact 0
		.amdhsa_exception_int_div_zero 0
	.end_amdhsa_kernel
	.section	.text._ZN9rocsparseL29bsrmmnt_small_blockdim_kernelILj64ELj32ELj2Eli21rocsparse_complex_numIfES2_S2_S2_EEv20rocsparse_direction_T3_S4_llNS_24const_host_device_scalarIT7_EEPKT2_PKS4_PKT4_PKT5_llS7_PT6_ll16rocsparse_order_21rocsparse_index_base_b,"axG",@progbits,_ZN9rocsparseL29bsrmmnt_small_blockdim_kernelILj64ELj32ELj2Eli21rocsparse_complex_numIfES2_S2_S2_EEv20rocsparse_direction_T3_S4_llNS_24const_host_device_scalarIT7_EEPKT2_PKS4_PKT4_PKT5_llS7_PT6_ll16rocsparse_order_21rocsparse_index_base_b,comdat
.Lfunc_end51:
	.size	_ZN9rocsparseL29bsrmmnt_small_blockdim_kernelILj64ELj32ELj2Eli21rocsparse_complex_numIfES2_S2_S2_EEv20rocsparse_direction_T3_S4_llNS_24const_host_device_scalarIT7_EEPKT2_PKS4_PKT4_PKT5_llS7_PT6_ll16rocsparse_order_21rocsparse_index_base_b, .Lfunc_end51-_ZN9rocsparseL29bsrmmnt_small_blockdim_kernelILj64ELj32ELj2Eli21rocsparse_complex_numIfES2_S2_S2_EEv20rocsparse_direction_T3_S4_llNS_24const_host_device_scalarIT7_EEPKT2_PKS4_PKT4_PKT5_llS7_PT6_ll16rocsparse_order_21rocsparse_index_base_b
                                        ; -- End function
	.section	.AMDGPU.csdata,"",@progbits
; Kernel info:
; codeLenInByte = 2060
; NumSgprs: 26
; NumVgprs: 45
; ScratchSize: 0
; MemoryBound: 0
; FloatMode: 240
; IeeeMode: 1
; LDSByteSize: 1792 bytes/workgroup (compile time only)
; SGPRBlocks: 3
; VGPRBlocks: 5
; NumSGPRsForWavesPerEU: 26
; NumVGPRsForWavesPerEU: 45
; Occupancy: 16
; WaveLimiterHint : 1
; COMPUTE_PGM_RSRC2:SCRATCH_EN: 0
; COMPUTE_PGM_RSRC2:USER_SGPR: 15
; COMPUTE_PGM_RSRC2:TRAP_HANDLER: 0
; COMPUTE_PGM_RSRC2:TGID_X_EN: 1
; COMPUTE_PGM_RSRC2:TGID_Y_EN: 0
; COMPUTE_PGM_RSRC2:TGID_Z_EN: 0
; COMPUTE_PGM_RSRC2:TIDIG_COMP_CNT: 0
	.section	.text._ZN9rocsparseL29bsrmmnt_small_blockdim_kernelILj64ELj64ELj2Eli21rocsparse_complex_numIfES2_S2_S2_EEv20rocsparse_direction_T3_S4_llNS_24const_host_device_scalarIT7_EEPKT2_PKS4_PKT4_PKT5_llS7_PT6_ll16rocsparse_order_21rocsparse_index_base_b,"axG",@progbits,_ZN9rocsparseL29bsrmmnt_small_blockdim_kernelILj64ELj64ELj2Eli21rocsparse_complex_numIfES2_S2_S2_EEv20rocsparse_direction_T3_S4_llNS_24const_host_device_scalarIT7_EEPKT2_PKS4_PKT4_PKT5_llS7_PT6_ll16rocsparse_order_21rocsparse_index_base_b,comdat
	.globl	_ZN9rocsparseL29bsrmmnt_small_blockdim_kernelILj64ELj64ELj2Eli21rocsparse_complex_numIfES2_S2_S2_EEv20rocsparse_direction_T3_S4_llNS_24const_host_device_scalarIT7_EEPKT2_PKS4_PKT4_PKT5_llS7_PT6_ll16rocsparse_order_21rocsparse_index_base_b ; -- Begin function _ZN9rocsparseL29bsrmmnt_small_blockdim_kernelILj64ELj64ELj2Eli21rocsparse_complex_numIfES2_S2_S2_EEv20rocsparse_direction_T3_S4_llNS_24const_host_device_scalarIT7_EEPKT2_PKS4_PKT4_PKT5_llS7_PT6_ll16rocsparse_order_21rocsparse_index_base_b
	.p2align	8
	.type	_ZN9rocsparseL29bsrmmnt_small_blockdim_kernelILj64ELj64ELj2Eli21rocsparse_complex_numIfES2_S2_S2_EEv20rocsparse_direction_T3_S4_llNS_24const_host_device_scalarIT7_EEPKT2_PKS4_PKT4_PKT5_llS7_PT6_ll16rocsparse_order_21rocsparse_index_base_b,@function
_ZN9rocsparseL29bsrmmnt_small_blockdim_kernelILj64ELj64ELj2Eli21rocsparse_complex_numIfES2_S2_S2_EEv20rocsparse_direction_T3_S4_llNS_24const_host_device_scalarIT7_EEPKT2_PKS4_PKT4_PKT5_llS7_PT6_ll16rocsparse_order_21rocsparse_index_base_b: ; @_ZN9rocsparseL29bsrmmnt_small_blockdim_kernelILj64ELj64ELj2Eli21rocsparse_complex_numIfES2_S2_S2_EEv20rocsparse_direction_T3_S4_llNS_24const_host_device_scalarIT7_EEPKT2_PKS4_PKT4_PKT5_llS7_PT6_ll16rocsparse_order_21rocsparse_index_base_b
; %bb.0:
	s_clause 0x2
	s_load_b128 s[16:19], s[0:1], 0x78
	s_load_b64 s[4:5], s[0:1], 0x20
	s_load_b64 s[2:3], s[0:1], 0x58
	s_waitcnt lgkmcnt(0)
	s_bitcmp1_b32 s18, 0
	v_mov_b32_e32 v15, s4
	s_cselect_b32 s6, -1, 0
	s_delay_alu instid0(SALU_CYCLE_1)
	s_and_b32 vcc_lo, exec_lo, s6
	s_xor_b32 s6, s6, -1
	s_cbranch_vccz .LBB52_35
; %bb.1:
	v_cndmask_b32_e64 v1, 0, 1, s6
	v_mov_b32_e32 v16, s5
	s_and_not1_b32 vcc_lo, exec_lo, s6
	s_cbranch_vccz .LBB52_36
.LBB52_2:
	s_delay_alu instid0(VALU_DEP_2)
	v_cmp_ne_u32_e32 vcc_lo, 1, v1
	v_mov_b32_e32 v17, s2
	s_cbranch_vccz .LBB52_37
.LBB52_3:
	v_cmp_ne_u32_e32 vcc_lo, 1, v1
	v_mov_b32_e32 v18, s3
	s_cbranch_vccnz .LBB52_5
.LBB52_4:
	v_dual_mov_b32 v1, s2 :: v_dual_mov_b32 v2, s3
	flat_load_b32 v18, v[1:2] offset:4
.LBB52_5:
	s_waitcnt vmcnt(0) lgkmcnt(0)
	v_cmp_eq_f32_e32 vcc_lo, 0, v15
	v_cmp_eq_f32_e64 s2, 0, v16
	s_delay_alu instid0(VALU_DEP_1)
	s_and_b32 s4, vcc_lo, s2
	s_mov_b32 s2, -1
	s_and_saveexec_b32 s3, s4
; %bb.6:
	v_cmp_neq_f32_e32 vcc_lo, 1.0, v17
	v_cmp_neq_f32_e64 s2, 0, v18
	s_delay_alu instid0(VALU_DEP_1) | instskip(NEXT) | instid1(SALU_CYCLE_1)
	s_or_b32 s2, vcc_lo, s2
	s_or_not1_b32 s2, s2, exec_lo
; %bb.7:
	s_or_b32 exec_lo, exec_lo, s3
	s_and_saveexec_b32 s3, s2
	s_cbranch_execz .LBB52_34
; %bb.8:
	s_clause 0x1
	s_load_b32 s2, s[0:1], 0x94
	s_load_b128 s[20:23], s[0:1], 0x0
	s_waitcnt lgkmcnt(0)
	s_and_b32 s2, s2, 0xffff
	s_delay_alu instid0(SALU_CYCLE_1) | instskip(NEXT) | instid1(VALU_DEP_1)
	v_mad_u64_u32 v[1:2], null, s15, s2, v[0:1]
	v_lshrrev_b32_e32 v2, 7, v1
	s_delay_alu instid0(VALU_DEP_1)
	v_cmp_gt_i32_e32 vcc_lo, s21, v2
	s_and_b32 exec_lo, exec_lo, vcc_lo
	s_cbranch_execz .LBB52_34
; %bb.9:
	s_cmp_lt_i32 s22, 1
	s_cbranch_scc1 .LBB52_34
; %bb.10:
	s_load_b256 s[4:11], s[0:1], 0x28
	v_dual_mov_b32 v19, 0 :: v_dual_lshlrev_b32 v2, 3, v2
	s_clause 0x1
	s_load_b128 s[12:15], s[0:1], 0x60
	s_load_b64 s[2:3], s[0:1], 0x48
	v_lshrrev_b32_e32 v4, 6, v1
	v_cmp_neq_f32_e32 vcc_lo, 0, v17
	v_cmp_neq_f32_e64 s0, 0, v18
	v_lshl_or_b32 v20, v0, 2, 0x600
	s_waitcnt lgkmcnt(0)
	global_load_b128 v[5:8], v2, s[4:5]
	s_or_b32 s4, vcc_lo, s0
	s_cmp_lg_u32 s16, 1
	v_mad_u64_u32 v[2:3], null, v4, s14, 0
	s_cselect_b32 s5, -1, 0
	s_cmp_eq_u32 s20, 0
	s_cselect_b32 s1, -1, 0
	s_delay_alu instid0(SALU_CYCLE_1) | instskip(NEXT) | instid1(VALU_DEP_2)
	v_cndmask_b32_e64 v11, 0, 1, s1
	v_mad_u64_u32 v[9:10], null, v4, s15, v[3:4]
	v_bfe_u32 v10, v1, 6, 1
	v_mul_u32_u24_e32 v1, 3, v0
	s_and_b32 s1, s1, exec_lo
	s_delay_alu instid0(VALU_DEP_2) | instskip(NEXT) | instid1(VALU_DEP_2)
	v_dual_mov_b32 v3, v9 :: v_dual_lshlrev_b32 v26, v11, v10
	v_lshlrev_b32_e32 v21, 3, v1
	v_lshlrev_b32_e32 v9, 3, v4
	s_delay_alu instid0(VALU_DEP_3) | instskip(NEXT) | instid1(VALU_DEP_1)
	v_lshlrev_b64 v[1:2], 3, v[2:3]
	v_add_co_u32 v22, vcc_lo, s12, v1
	s_delay_alu instid0(VALU_DEP_2) | instskip(NEXT) | instid1(VALU_DEP_4)
	v_add_co_ci_u32_e32 v23, vcc_lo, s13, v2, vcc_lo
	v_add_co_u32 v24, s12, s12, v9
	s_delay_alu instid0(VALU_DEP_1)
	v_add_co_ci_u32_e64 v25, null, s13, 0, s12
	s_mov_b32 s12, 0
	s_cselect_b32 s13, 1, 2
	s_waitcnt vmcnt(0)
	v_sub_co_u32 v1, vcc_lo, v5, s17
	v_subrev_co_ci_u32_e32 v2, vcc_lo, 0, v6, vcc_lo
	v_sub_co_u32 v3, vcc_lo, v7, s17
	v_cmp_lt_i64_e64 s0, v[5:6], v[7:8]
	v_subrev_co_ci_u32_e32 v4, vcc_lo, 0, v8, vcc_lo
	s_branch .LBB52_12
.LBB52_11:                              ;   in Loop: Header=BB52_12 Depth=1
	s_or_b32 exec_lo, exec_lo, s1
	s_add_i32 s12, s12, 64
	s_delay_alu instid0(SALU_CYCLE_1)
	s_cmp_lt_i32 s12, s22
	s_cbranch_scc0 .LBB52_34
.LBB52_12:                              ; =>This Loop Header: Depth=1
                                        ;     Child Loop BB52_15 Depth 2
                                        ;       Child Loop BB52_21 Depth 3
	v_or_b32_e32 v5, s12, v0
	v_dual_mov_b32 v27, 0 :: v_dual_mov_b32 v28, 0
	s_delay_alu instid0(VALU_DEP_2)
	v_ashrrev_i32_e32 v6, 31, v5
	s_and_saveexec_b32 s16, s0
	s_cbranch_execz .LBB52_23
; %bb.13:                               ;   in Loop: Header=BB52_12 Depth=1
	s_delay_alu instid0(VALU_DEP_1) | instskip(SKIP_4) | instid1(VALU_DEP_4)
	v_lshlrev_b64 v[7:8], 3, v[5:6]
	v_mov_b32_e32 v27, 0
	v_cmp_gt_i32_e32 vcc_lo, s22, v5
	s_mov_b32 s18, 0
	v_mov_b32_e32 v28, 0
	v_add_co_u32 v29, s1, s10, v7
	s_delay_alu instid0(VALU_DEP_1)
	v_add_co_ci_u32_e64 v30, s1, s11, v8, s1
	v_dual_mov_b32 v8, v2 :: v_dual_mov_b32 v7, v1
	s_branch .LBB52_15
.LBB52_14:                              ;   in Loop: Header=BB52_15 Depth=2
	s_or_b32 exec_lo, exec_lo, s19
	v_add_co_u32 v7, s1, v7, 64
	s_delay_alu instid0(VALU_DEP_1) | instskip(NEXT) | instid1(VALU_DEP_1)
	v_add_co_ci_u32_e64 v8, s1, 0, v8, s1
	v_cmp_ge_i64_e64 s1, v[7:8], v[3:4]
	s_delay_alu instid0(VALU_DEP_1) | instskip(NEXT) | instid1(SALU_CYCLE_1)
	s_or_b32 s18, s1, s18
	s_and_not1_b32 exec_lo, exec_lo, s18
	s_cbranch_execz .LBB52_22
.LBB52_15:                              ;   Parent Loop BB52_12 Depth=1
                                        ; =>  This Loop Header: Depth=2
                                        ;       Child Loop BB52_21 Depth 3
	s_delay_alu instid0(VALU_DEP_1) | instskip(NEXT) | instid1(VALU_DEP_1)
	v_add_co_u32 v11, s1, v7, v0
	v_add_co_ci_u32_e64 v12, s1, 0, v8, s1
                                        ; implicit-def: $sgpr20
	s_delay_alu instid0(VALU_DEP_1) | instskip(NEXT) | instid1(VALU_DEP_1)
	v_cmp_ge_i64_e64 s1, v[11:12], v[3:4]
	s_and_saveexec_b32 s19, s1
	s_delay_alu instid0(SALU_CYCLE_1)
	s_xor_b32 s1, exec_lo, s19
	s_cbranch_execz .LBB52_17
; %bb.16:                               ;   in Loop: Header=BB52_15 Depth=2
	s_mov_b32 s20, 0
	ds_store_b32 v20, v19
                                        ; implicit-def: $vgpr11_vgpr12
.LBB52_17:                              ;   in Loop: Header=BB52_15 Depth=2
	s_or_saveexec_b32 s19, s1
	v_dual_mov_b32 v9, s20 :: v_dual_mov_b32 v10, s20
	v_dual_mov_b32 v13, s20 :: v_dual_mov_b32 v14, s20
	s_xor_b32 exec_lo, exec_lo, s19
	s_cbranch_execz .LBB52_19
; %bb.18:                               ;   in Loop: Header=BB52_15 Depth=2
	v_lshlrev_b64 v[9:10], 2, v[11:12]
	s_delay_alu instid0(VALU_DEP_1) | instskip(NEXT) | instid1(VALU_DEP_2)
	v_or_b32_e32 v12, 0, v10
	v_or_b32_e32 v11, v9, v26
	v_add_co_u32 v9, s1, s6, v9
	s_delay_alu instid0(VALU_DEP_1) | instskip(NEXT) | instid1(VALU_DEP_4)
	v_add_co_ci_u32_e64 v10, s1, s7, v10, s1
	v_or_b32_e32 v14, 0, v12
	s_delay_alu instid0(VALU_DEP_4) | instskip(SKIP_4) | instid1(VALU_DEP_1)
	v_or_b32_e32 v13, s13, v11
	v_lshlrev_b64 v[11:12], 3, v[11:12]
	global_load_b32 v31, v[9:10], off
	v_lshlrev_b64 v[9:10], 3, v[13:14]
	v_add_co_u32 v11, s1, s8, v11
	v_add_co_ci_u32_e64 v12, s1, s9, v12, s1
	s_delay_alu instid0(VALU_DEP_3) | instskip(NEXT) | instid1(VALU_DEP_1)
	v_add_co_u32 v13, s1, s8, v9
	v_add_co_ci_u32_e64 v14, s1, s9, v10, s1
	s_clause 0x1
	global_load_b64 v[9:10], v[11:12], off
	global_load_b64 v[13:14], v[13:14], off
	s_waitcnt vmcnt(2)
	v_subrev_nc_u32_e32 v11, s17, v31
	s_delay_alu instid0(VALU_DEP_1)
	v_lshlrev_b32_e32 v11, 1, v11
	ds_store_b32 v20, v11
.LBB52_19:                              ;   in Loop: Header=BB52_15 Depth=2
	s_or_b32 exec_lo, exec_lo, s19
	s_waitcnt vmcnt(0)
	ds_store_2addr_b64 v21, v[9:10], v[13:14] offset1:1
	s_waitcnt lgkmcnt(0)
	s_waitcnt_vscnt null, 0x0
	s_barrier
	buffer_gl0_inv
	s_and_saveexec_b32 s19, vcc_lo
	s_cbranch_execz .LBB52_14
; %bb.20:                               ;   in Loop: Header=BB52_15 Depth=2
	v_mov_b32_e32 v9, 0
	s_mov_b32 s20, 0
.LBB52_21:                              ;   Parent Loop BB52_12 Depth=1
                                        ;     Parent Loop BB52_15 Depth=2
                                        ; =>    This Inner Loop Header: Depth=3
	s_delay_alu instid0(SALU_CYCLE_1) | instskip(SKIP_1) | instid1(SALU_CYCLE_1)
	v_add_nc_u32_e64 v10, 0x600, s20
	s_add_i32 s20, s20, 8
	s_cmpk_lg_i32 s20, 0x100
	ds_load_b64 v[10:11], v10
	s_waitcnt lgkmcnt(0)
	v_ashrrev_i32_e32 v14, 31, v10
	v_mul_lo_u32 v35, v10, s3
	v_mad_u64_u32 v[12:13], null, v10, s2, 0
	v_ashrrev_i32_e32 v34, 31, v11
	s_delay_alu instid0(VALU_DEP_4) | instskip(SKIP_2) | instid1(VALU_DEP_4)
	v_mul_lo_u32 v14, v14, s2
	v_mul_lo_u32 v36, v11, s3
	v_mad_u64_u32 v[31:32], null, v11, s2, 0
	v_mul_lo_u32 v40, v34, s2
	v_add_nc_u32_e32 v37, 1, v11
	v_add3_u32 v13, v13, v35, v14
	s_delay_alu instid0(VALU_DEP_2) | instskip(SKIP_2) | instid1(VALU_DEP_4)
	v_ashrrev_i32_e32 v41, 31, v37
	v_mul_lo_u32 v42, v37, s3
	v_add3_u32 v32, v32, v36, v40
	v_lshlrev_b64 v[12:13], 3, v[12:13]
	s_delay_alu instid0(VALU_DEP_1) | instskip(NEXT) | instid1(VALU_DEP_1)
	v_add_co_u32 v12, s1, v29, v12
	v_add_co_ci_u32_e64 v13, s1, v30, v13, s1
	global_load_b64 v[35:36], v[12:13], off
	v_add_nc_u32_e32 v33, 1, v10
	s_delay_alu instid0(VALU_DEP_1) | instskip(SKIP_3) | instid1(VALU_DEP_4)
	v_ashrrev_i32_e32 v38, 31, v33
	v_mul_lo_u32 v39, v33, s3
	v_mad_u64_u32 v[10:11], null, v33, s2, 0
	v_mad_u64_u32 v[33:34], null, v37, s2, 0
	v_mul_lo_u32 v37, v38, s2
	v_mul_lo_u32 v38, v41, s2
	s_delay_alu instid0(VALU_DEP_2) | instskip(NEXT) | instid1(VALU_DEP_2)
	v_add3_u32 v11, v11, v39, v37
	v_add3_u32 v34, v34, v42, v38
	s_delay_alu instid0(VALU_DEP_2) | instskip(NEXT) | instid1(VALU_DEP_1)
	v_lshlrev_b64 v[10:11], 3, v[10:11]
	v_add_co_u32 v10, s1, v29, v10
	s_delay_alu instid0(VALU_DEP_1) | instskip(SKIP_2) | instid1(VALU_DEP_1)
	v_add_co_ci_u32_e64 v11, s1, v30, v11, s1
	global_load_b64 v[37:38], v[10:11], off
	v_lshlrev_b64 v[12:13], 3, v[31:32]
	v_add_co_u32 v10, s1, v29, v12
	s_delay_alu instid0(VALU_DEP_1) | instskip(SKIP_3) | instid1(VALU_DEP_1)
	v_add_co_ci_u32_e64 v11, s1, v30, v13, s1
	v_lshlrev_b64 v[12:13], 3, v[33:34]
	global_load_b64 v[39:40], v[10:11], off
	v_add_co_u32 v10, s1, v29, v12
	v_add_co_ci_u32_e64 v11, s1, v30, v13, s1
	global_load_b64 v[41:42], v[10:11], off
	ds_load_b128 v[10:13], v9
	ds_load_2addr_b64 v[31:34], v9 offset0:3 offset1:4
	s_waitcnt vmcnt(3) lgkmcnt(1)
	v_dual_fmac_f32 v28, v10, v35 :: v_dual_add_nc_u32 v9, 48, v9
	v_fmac_f32_e32 v27, v11, v35
	s_delay_alu instid0(VALU_DEP_2) | instskip(NEXT) | instid1(VALU_DEP_2)
	v_fma_f32 v11, -v11, v36, v28
	v_fmac_f32_e32 v27, v10, v36
	s_waitcnt vmcnt(2)
	s_delay_alu instid0(VALU_DEP_2) | instskip(NEXT) | instid1(VALU_DEP_1)
	v_fmac_f32_e32 v11, v12, v37
	v_fma_f32 v10, -v13, v38, v11
	s_waitcnt vmcnt(1) lgkmcnt(0)
	s_delay_alu instid0(VALU_DEP_1) | instskip(NEXT) | instid1(VALU_DEP_1)
	v_dual_fmac_f32 v10, v31, v39 :: v_dual_fmac_f32 v27, v13, v37
	v_fma_f32 v10, -v32, v40, v10
	s_waitcnt vmcnt(0)
	s_delay_alu instid0(VALU_DEP_1) | instskip(NEXT) | instid1(VALU_DEP_1)
	v_dual_fmac_f32 v27, v12, v38 :: v_dual_fmac_f32 v10, v33, v41
	v_fmac_f32_e32 v27, v32, v39
	s_delay_alu instid0(VALU_DEP_2) | instskip(NEXT) | instid1(VALU_DEP_2)
	v_fma_f32 v28, -v34, v42, v10
	v_fmac_f32_e32 v27, v31, v40
	s_delay_alu instid0(VALU_DEP_1) | instskip(NEXT) | instid1(VALU_DEP_1)
	v_fmac_f32_e32 v27, v34, v41
	v_fmac_f32_e32 v27, v33, v42
	s_cbranch_scc1 .LBB52_21
	s_branch .LBB52_14
.LBB52_22:                              ;   in Loop: Header=BB52_12 Depth=1
	s_or_b32 exec_lo, exec_lo, s18
.LBB52_23:                              ;   in Loop: Header=BB52_12 Depth=1
	s_delay_alu instid0(SALU_CYCLE_1) | instskip(NEXT) | instid1(SALU_CYCLE_1)
	s_or_b32 exec_lo, exec_lo, s16
	s_mov_b32 s1, exec_lo
	v_cmpx_gt_i32_e64 s22, v5
	s_cbranch_execz .LBB52_11
; %bb.24:                               ;   in Loop: Header=BB52_12 Depth=1
	s_and_saveexec_b32 s16, s4
	s_delay_alu instid0(SALU_CYCLE_1)
	s_xor_b32 s16, exec_lo, s16
	s_cbranch_execz .LBB52_29
; %bb.25:                               ;   in Loop: Header=BB52_12 Depth=1
	s_and_b32 vcc_lo, exec_lo, s5
	s_mov_b32 s18, -1
	s_cbranch_vccz .LBB52_27
; %bb.26:                               ;   in Loop: Header=BB52_12 Depth=1
	v_lshlrev_b64 v[7:8], 3, v[5:6]
	v_mul_f32_e64 v11, v27, -v16
	s_mov_b32 s18, 0
	s_delay_alu instid0(VALU_DEP_2) | instskip(NEXT) | instid1(VALU_DEP_3)
	v_add_co_u32 v7, vcc_lo, v22, v7
	v_add_co_ci_u32_e32 v8, vcc_lo, v23, v8, vcc_lo
	global_load_b64 v[9:10], v[7:8], off
	v_fmac_f32_e32 v11, v15, v28
	s_waitcnt vmcnt(0)
	s_delay_alu instid0(VALU_DEP_1) | instskip(NEXT) | instid1(VALU_DEP_1)
	v_dual_mul_f32 v12, v27, v15 :: v_dual_fmac_f32 v11, v17, v9
	v_fmac_f32_e32 v12, v16, v28
	s_delay_alu instid0(VALU_DEP_2) | instskip(NEXT) | instid1(VALU_DEP_2)
	v_fma_f32 v11, -v18, v10, v11
	v_fmac_f32_e32 v12, v18, v9
	s_delay_alu instid0(VALU_DEP_1)
	v_fmac_f32_e32 v12, v17, v10
	global_store_b64 v[7:8], v[11:12], off
.LBB52_27:                              ;   in Loop: Header=BB52_12 Depth=1
	s_and_not1_b32 vcc_lo, exec_lo, s18
	s_cbranch_vccnz .LBB52_29
; %bb.28:                               ;   in Loop: Header=BB52_12 Depth=1
	v_mul_lo_u32 v8, v6, s14
	v_mul_lo_u32 v9, v5, s15
	v_mad_u64_u32 v[6:7], null, v5, s14, 0
	v_mul_f32_e32 v10, v27, v15
	s_delay_alu instid0(VALU_DEP_2) | instskip(SKIP_1) | instid1(VALU_DEP_2)
	v_add3_u32 v7, v7, v9, v8
	v_mul_f32_e64 v9, v27, -v16
                                        ; implicit-def: $vgpr27
	v_lshlrev_b64 v[5:6], 3, v[6:7]
	s_delay_alu instid0(VALU_DEP_1) | instskip(NEXT) | instid1(VALU_DEP_2)
	v_add_co_u32 v5, vcc_lo, v24, v5
	v_add_co_ci_u32_e32 v6, vcc_lo, v25, v6, vcc_lo
	global_load_b64 v[7:8], v[5:6], off
	v_fmac_f32_e32 v10, v16, v28
	v_fmac_f32_e32 v9, v15, v28
                                        ; implicit-def: $vgpr28
	s_waitcnt vmcnt(0)
	s_delay_alu instid0(VALU_DEP_2) | instskip(NEXT) | instid1(VALU_DEP_2)
	v_fmac_f32_e32 v10, v18, v7
	v_fmac_f32_e32 v9, v17, v7
	s_delay_alu instid0(VALU_DEP_2) | instskip(NEXT) | instid1(VALU_DEP_2)
	v_fmac_f32_e32 v10, v17, v8
	v_fma_f32 v9, -v18, v8, v9
	global_store_b64 v[5:6], v[9:10], off
                                        ; implicit-def: $vgpr5
.LBB52_29:                              ;   in Loop: Header=BB52_12 Depth=1
	s_and_not1_saveexec_b32 s16, s16
	s_cbranch_execz .LBB52_11
; %bb.30:                               ;   in Loop: Header=BB52_12 Depth=1
	v_mul_f32_e64 v7, v27, -v16
	v_mul_f32_e32 v8, v27, v15
	s_and_b32 vcc_lo, exec_lo, s5
	s_mov_b32 s16, -1
	s_delay_alu instid0(VALU_DEP_2) | instskip(NEXT) | instid1(VALU_DEP_2)
	v_fmac_f32_e32 v7, v15, v28
	v_fmac_f32_e32 v8, v16, v28
	s_cbranch_vccz .LBB52_32
; %bb.31:                               ;   in Loop: Header=BB52_12 Depth=1
	v_lshlrev_b64 v[9:10], 3, v[5:6]
	s_mov_b32 s16, 0
	s_delay_alu instid0(VALU_DEP_1) | instskip(NEXT) | instid1(VALU_DEP_2)
	v_add_co_u32 v9, vcc_lo, v22, v9
	v_add_co_ci_u32_e32 v10, vcc_lo, v23, v10, vcc_lo
	global_store_b64 v[9:10], v[7:8], off
.LBB52_32:                              ;   in Loop: Header=BB52_12 Depth=1
	s_and_not1_b32 vcc_lo, exec_lo, s16
	s_cbranch_vccnz .LBB52_11
; %bb.33:                               ;   in Loop: Header=BB52_12 Depth=1
	v_mul_lo_u32 v6, v6, s14
	v_mul_lo_u32 v11, v5, s15
	v_mad_u64_u32 v[9:10], null, v5, s14, 0
	s_delay_alu instid0(VALU_DEP_1) | instskip(NEXT) | instid1(VALU_DEP_1)
	v_add3_u32 v10, v10, v11, v6
	v_lshlrev_b64 v[5:6], 3, v[9:10]
	s_delay_alu instid0(VALU_DEP_1) | instskip(NEXT) | instid1(VALU_DEP_2)
	v_add_co_u32 v5, vcc_lo, v24, v5
	v_add_co_ci_u32_e32 v6, vcc_lo, v25, v6, vcc_lo
	global_store_b64 v[5:6], v[7:8], off
	s_branch .LBB52_11
.LBB52_34:
	s_nop 0
	s_sendmsg sendmsg(MSG_DEALLOC_VGPRS)
	s_endpgm
.LBB52_35:
	v_dual_mov_b32 v1, s4 :: v_dual_mov_b32 v2, s5
	flat_load_b32 v15, v[1:2]
	v_cndmask_b32_e64 v1, 0, 1, s6
	v_mov_b32_e32 v16, s5
	s_and_not1_b32 vcc_lo, exec_lo, s6
	s_cbranch_vccnz .LBB52_2
.LBB52_36:
	v_dual_mov_b32 v2, s4 :: v_dual_mov_b32 v3, s5
	flat_load_b32 v16, v[2:3] offset:4
	v_cmp_ne_u32_e32 vcc_lo, 1, v1
	v_mov_b32_e32 v17, s2
	s_cbranch_vccnz .LBB52_3
.LBB52_37:
	v_dual_mov_b32 v2, s2 :: v_dual_mov_b32 v3, s3
	flat_load_b32 v17, v[2:3]
	v_cmp_ne_u32_e32 vcc_lo, 1, v1
	v_mov_b32_e32 v18, s3
	s_cbranch_vccz .LBB52_4
	s_branch .LBB52_5
	.section	.rodata,"a",@progbits
	.p2align	6, 0x0
	.amdhsa_kernel _ZN9rocsparseL29bsrmmnt_small_blockdim_kernelILj64ELj64ELj2Eli21rocsparse_complex_numIfES2_S2_S2_EEv20rocsparse_direction_T3_S4_llNS_24const_host_device_scalarIT7_EEPKT2_PKS4_PKT4_PKT5_llS7_PT6_ll16rocsparse_order_21rocsparse_index_base_b
		.amdhsa_group_segment_fixed_size 1792
		.amdhsa_private_segment_fixed_size 0
		.amdhsa_kernarg_size 392
		.amdhsa_user_sgpr_count 15
		.amdhsa_user_sgpr_dispatch_ptr 0
		.amdhsa_user_sgpr_queue_ptr 0
		.amdhsa_user_sgpr_kernarg_segment_ptr 1
		.amdhsa_user_sgpr_dispatch_id 0
		.amdhsa_user_sgpr_private_segment_size 0
		.amdhsa_wavefront_size32 1
		.amdhsa_uses_dynamic_stack 0
		.amdhsa_enable_private_segment 0
		.amdhsa_system_sgpr_workgroup_id_x 1
		.amdhsa_system_sgpr_workgroup_id_y 0
		.amdhsa_system_sgpr_workgroup_id_z 0
		.amdhsa_system_sgpr_workgroup_info 0
		.amdhsa_system_vgpr_workitem_id 0
		.amdhsa_next_free_vgpr 43
		.amdhsa_next_free_sgpr 24
		.amdhsa_reserve_vcc 1
		.amdhsa_float_round_mode_32 0
		.amdhsa_float_round_mode_16_64 0
		.amdhsa_float_denorm_mode_32 3
		.amdhsa_float_denorm_mode_16_64 3
		.amdhsa_dx10_clamp 1
		.amdhsa_ieee_mode 1
		.amdhsa_fp16_overflow 0
		.amdhsa_workgroup_processor_mode 1
		.amdhsa_memory_ordered 1
		.amdhsa_forward_progress 0
		.amdhsa_shared_vgpr_count 0
		.amdhsa_exception_fp_ieee_invalid_op 0
		.amdhsa_exception_fp_denorm_src 0
		.amdhsa_exception_fp_ieee_div_zero 0
		.amdhsa_exception_fp_ieee_overflow 0
		.amdhsa_exception_fp_ieee_underflow 0
		.amdhsa_exception_fp_ieee_inexact 0
		.amdhsa_exception_int_div_zero 0
	.end_amdhsa_kernel
	.section	.text._ZN9rocsparseL29bsrmmnt_small_blockdim_kernelILj64ELj64ELj2Eli21rocsparse_complex_numIfES2_S2_S2_EEv20rocsparse_direction_T3_S4_llNS_24const_host_device_scalarIT7_EEPKT2_PKS4_PKT4_PKT5_llS7_PT6_ll16rocsparse_order_21rocsparse_index_base_b,"axG",@progbits,_ZN9rocsparseL29bsrmmnt_small_blockdim_kernelILj64ELj64ELj2Eli21rocsparse_complex_numIfES2_S2_S2_EEv20rocsparse_direction_T3_S4_llNS_24const_host_device_scalarIT7_EEPKT2_PKS4_PKT4_PKT5_llS7_PT6_ll16rocsparse_order_21rocsparse_index_base_b,comdat
.Lfunc_end52:
	.size	_ZN9rocsparseL29bsrmmnt_small_blockdim_kernelILj64ELj64ELj2Eli21rocsparse_complex_numIfES2_S2_S2_EEv20rocsparse_direction_T3_S4_llNS_24const_host_device_scalarIT7_EEPKT2_PKS4_PKT4_PKT5_llS7_PT6_ll16rocsparse_order_21rocsparse_index_base_b, .Lfunc_end52-_ZN9rocsparseL29bsrmmnt_small_blockdim_kernelILj64ELj64ELj2Eli21rocsparse_complex_numIfES2_S2_S2_EEv20rocsparse_direction_T3_S4_llNS_24const_host_device_scalarIT7_EEPKT2_PKS4_PKT4_PKT5_llS7_PT6_ll16rocsparse_order_21rocsparse_index_base_b
                                        ; -- End function
	.section	.AMDGPU.csdata,"",@progbits
; Kernel info:
; codeLenInByte = 2028
; NumSgprs: 26
; NumVgprs: 43
; ScratchSize: 0
; MemoryBound: 0
; FloatMode: 240
; IeeeMode: 1
; LDSByteSize: 1792 bytes/workgroup (compile time only)
; SGPRBlocks: 3
; VGPRBlocks: 5
; NumSGPRsForWavesPerEU: 26
; NumVGPRsForWavesPerEU: 43
; Occupancy: 16
; WaveLimiterHint : 1
; COMPUTE_PGM_RSRC2:SCRATCH_EN: 0
; COMPUTE_PGM_RSRC2:USER_SGPR: 15
; COMPUTE_PGM_RSRC2:TRAP_HANDLER: 0
; COMPUTE_PGM_RSRC2:TGID_X_EN: 1
; COMPUTE_PGM_RSRC2:TGID_Y_EN: 0
; COMPUTE_PGM_RSRC2:TGID_Z_EN: 0
; COMPUTE_PGM_RSRC2:TIDIG_COMP_CNT: 0
	.section	.text._ZN9rocsparseL29bsrmmnt_small_blockdim_kernelILj64ELj8ELj2Ell21rocsparse_complex_numIfES2_S2_S2_EEv20rocsparse_direction_T3_S4_llNS_24const_host_device_scalarIT7_EEPKT2_PKS4_PKT4_PKT5_llS7_PT6_ll16rocsparse_order_21rocsparse_index_base_b,"axG",@progbits,_ZN9rocsparseL29bsrmmnt_small_blockdim_kernelILj64ELj8ELj2Ell21rocsparse_complex_numIfES2_S2_S2_EEv20rocsparse_direction_T3_S4_llNS_24const_host_device_scalarIT7_EEPKT2_PKS4_PKT4_PKT5_llS7_PT6_ll16rocsparse_order_21rocsparse_index_base_b,comdat
	.globl	_ZN9rocsparseL29bsrmmnt_small_blockdim_kernelILj64ELj8ELj2Ell21rocsparse_complex_numIfES2_S2_S2_EEv20rocsparse_direction_T3_S4_llNS_24const_host_device_scalarIT7_EEPKT2_PKS4_PKT4_PKT5_llS7_PT6_ll16rocsparse_order_21rocsparse_index_base_b ; -- Begin function _ZN9rocsparseL29bsrmmnt_small_blockdim_kernelILj64ELj8ELj2Ell21rocsparse_complex_numIfES2_S2_S2_EEv20rocsparse_direction_T3_S4_llNS_24const_host_device_scalarIT7_EEPKT2_PKS4_PKT4_PKT5_llS7_PT6_ll16rocsparse_order_21rocsparse_index_base_b
	.p2align	8
	.type	_ZN9rocsparseL29bsrmmnt_small_blockdim_kernelILj64ELj8ELj2Ell21rocsparse_complex_numIfES2_S2_S2_EEv20rocsparse_direction_T3_S4_llNS_24const_host_device_scalarIT7_EEPKT2_PKS4_PKT4_PKT5_llS7_PT6_ll16rocsparse_order_21rocsparse_index_base_b,@function
_ZN9rocsparseL29bsrmmnt_small_blockdim_kernelILj64ELj8ELj2Ell21rocsparse_complex_numIfES2_S2_S2_EEv20rocsparse_direction_T3_S4_llNS_24const_host_device_scalarIT7_EEPKT2_PKS4_PKT4_PKT5_llS7_PT6_ll16rocsparse_order_21rocsparse_index_base_b: ; @_ZN9rocsparseL29bsrmmnt_small_blockdim_kernelILj64ELj8ELj2Ell21rocsparse_complex_numIfES2_S2_S2_EEv20rocsparse_direction_T3_S4_llNS_24const_host_device_scalarIT7_EEPKT2_PKS4_PKT4_PKT5_llS7_PT6_ll16rocsparse_order_21rocsparse_index_base_b
; %bb.0:
	s_clause 0x2
	s_load_b128 s[20:23], s[0:1], 0x80
	s_load_b64 s[4:5], s[0:1], 0x28
	s_load_b64 s[2:3], s[0:1], 0x60
	s_waitcnt lgkmcnt(0)
	s_bitcmp1_b32 s22, 0
	v_mov_b32_e32 v19, s4
	s_cselect_b32 s6, -1, 0
	s_delay_alu instid0(SALU_CYCLE_1)
	s_and_b32 vcc_lo, exec_lo, s6
	s_xor_b32 s6, s6, -1
	s_cbranch_vccz .LBB53_35
; %bb.1:
	v_cndmask_b32_e64 v1, 0, 1, s6
	v_mov_b32_e32 v20, s5
	s_and_not1_b32 vcc_lo, exec_lo, s6
	s_cbranch_vccz .LBB53_36
.LBB53_2:
	s_delay_alu instid0(VALU_DEP_2)
	v_cmp_ne_u32_e32 vcc_lo, 1, v1
	v_mov_b32_e32 v21, s2
	s_cbranch_vccz .LBB53_37
.LBB53_3:
	v_cmp_ne_u32_e32 vcc_lo, 1, v1
	v_mov_b32_e32 v22, s3
	s_cbranch_vccnz .LBB53_5
.LBB53_4:
	v_dual_mov_b32 v1, s2 :: v_dual_mov_b32 v2, s3
	flat_load_b32 v22, v[1:2] offset:4
.LBB53_5:
	s_waitcnt vmcnt(0) lgkmcnt(0)
	v_cmp_eq_f32_e32 vcc_lo, 0, v19
	v_cmp_eq_f32_e64 s2, 0, v20
	s_delay_alu instid0(VALU_DEP_1)
	s_and_b32 s4, vcc_lo, s2
	s_mov_b32 s2, -1
	s_and_saveexec_b32 s3, s4
; %bb.6:
	v_cmp_neq_f32_e32 vcc_lo, 1.0, v21
	v_cmp_neq_f32_e64 s2, 0, v22
	s_delay_alu instid0(VALU_DEP_1) | instskip(NEXT) | instid1(SALU_CYCLE_1)
	s_or_b32 s2, vcc_lo, s2
	s_or_not1_b32 s2, s2, exec_lo
; %bb.7:
	s_or_b32 exec_lo, exec_lo, s3
	s_and_saveexec_b32 s3, s2
	s_cbranch_execz .LBB53_34
; %bb.8:
	s_clause 0x1
	s_load_b32 s2, s[0:1], 0x9c
	s_load_b128 s[16:19], s[0:1], 0x8
	v_mov_b32_e32 v4, 0
	s_waitcnt lgkmcnt(0)
	s_and_b32 s2, s2, 0xffff
	s_delay_alu instid0(SALU_CYCLE_1) | instskip(NEXT) | instid1(VALU_DEP_1)
	v_mad_u64_u32 v[2:3], null, s15, s2, v[0:1]
	v_lshrrev_b32_e32 v3, 4, v2
	s_delay_alu instid0(VALU_DEP_1)
	v_cmp_gt_i64_e32 vcc_lo, s[16:17], v[3:4]
	s_and_b32 exec_lo, exec_lo, vcc_lo
	s_cbranch_execz .LBB53_34
; %bb.9:
	v_cmp_lt_i64_e64 s2, s[18:19], 1
	s_delay_alu instid0(VALU_DEP_1)
	s_and_b32 vcc_lo, exec_lo, s2
	s_cbranch_vccnz .LBB53_34
; %bb.10:
	s_clause 0x2
	s_load_b128 s[12:15], s[0:1], 0x68
	s_load_b64 s[2:3], s[0:1], 0x50
	s_load_b256 s[4:11], s[0:1], 0x30
	v_lshrrev_b32_e32 v6, 3, v2
	v_lshlrev_b32_e32 v1, 3, v3
	v_and_b32_e32 v23, 7, v0
	v_lshrrev_b32_e32 v13, 3, v0
	s_load_b32 s1, s[0:1], 0x0
	v_bfe_u32 v11, v2, 3, 1
	v_cmp_neq_f32_e32 vcc_lo, 0, v21
	v_cmp_neq_f32_e64 s0, 0, v22
	v_mul_u32_u24_e32 v24, 0xc0, v13
	s_mov_b32 s16, s21
	v_and_b32_e32 v14, -8, v2
	s_delay_alu instid0(VALU_DEP_3)
	s_or_b32 s17, vcc_lo, s0
	s_cmp_lg_u32 s20, 1
	s_cselect_b32 s20, -1, 0
	s_waitcnt lgkmcnt(0)
	v_mad_u64_u32 v[3:4], null, v6, s14, 0
	v_add_co_u32 v27, s0, s12, v14
	s_delay_alu instid0(VALU_DEP_1) | instskip(SKIP_1) | instid1(VALU_DEP_3)
	v_add_co_ci_u32_e64 v28, null, s13, 0, s0
	s_cmp_eq_u32 s1, 0
	v_mov_b32_e32 v0, v4
	global_load_b128 v[7:10], v1, s[4:5]
	v_mov_b32_e32 v1, 0
	s_cselect_b32 s1, -1, 0
	s_mov_b64 s[4:5], 0
	s_delay_alu instid0(VALU_DEP_1) | instskip(SKIP_3) | instid1(VALU_DEP_3)
	v_mov_b32_e32 v12, v1
	v_mul_u32_u24_e32 v2, 3, v23
	v_mad_u64_u32 v[4:5], null, v6, s15, v[0:1]
	v_lshl_or_b32 v0, v13, 6, 0x600
	v_lshlrev_b32_e32 v2, 3, v2
	s_delay_alu instid0(VALU_DEP_2) | instskip(NEXT) | instid1(VALU_DEP_2)
	v_lshl_or_b32 v25, v23, 3, v0
	v_mad_u32_u24 v26, 0xc0, v13, v2
	v_lshlrev_b64 v[2:3], 3, v[3:4]
	v_cndmask_b32_e64 v13, 0, 1, s1
	s_and_b32 s1, s1, exec_lo
	s_delay_alu instid0(VALU_DEP_2) | instskip(NEXT) | instid1(VALU_DEP_3)
	v_add_co_u32 v29, vcc_lo, s12, v2
	v_add_co_ci_u32_e32 v30, vcc_lo, s13, v3, vcc_lo
	s_waitcnt vmcnt(0)
	v_sub_co_u32 v3, vcc_lo, v7, s21
	v_subrev_co_ci_u32_e32 v4, vcc_lo, 0, v8, vcc_lo
	v_sub_co_u32 v5, vcc_lo, v9, s21
	v_cmp_lt_i64_e64 s0, v[7:8], v[9:10]
	v_lshlrev_b64 v[7:8], v13, v[11:12]
	v_subrev_co_ci_u32_e32 v6, vcc_lo, 0, v10, vcc_lo
	s_cselect_b32 s21, 1, 2
	s_lshl_b64 s[12:13], s[2:3], 3
	s_branch .LBB53_12
.LBB53_11:                              ;   in Loop: Header=BB53_12 Depth=1
	s_or_b32 exec_lo, exec_lo, s1
	s_add_u32 s4, s4, 8
	s_addc_u32 s5, s5, 0
	s_delay_alu instid0(SALU_CYCLE_1) | instskip(NEXT) | instid1(VALU_DEP_1)
	v_cmp_lt_i64_e64 s1, s[4:5], s[18:19]
	s_and_b32 vcc_lo, exec_lo, s1
	s_cbranch_vccz .LBB53_34
.LBB53_12:                              ; =>This Loop Header: Depth=1
                                        ;     Child Loop BB53_15 Depth 2
                                        ;       Child Loop BB53_21 Depth 3
	v_or_b32_e64 v10, s5, 0
	v_or_b32_e32 v9, s4, v23
	v_mov_b32_e32 v31, v1
	v_mov_b32_e32 v32, v1
	s_and_saveexec_b32 s22, s0
	s_cbranch_execz .LBB53_23
; %bb.13:                               ;   in Loop: Header=BB53_12 Depth=1
	v_lshlrev_b64 v[11:12], 3, v[9:10]
	v_cmp_gt_i64_e32 vcc_lo, s[18:19], v[9:10]
	v_mov_b32_e32 v31, 0
	s_mov_b32 s23, 0
	v_mov_b32_e32 v32, 0
	s_delay_alu instid0(VALU_DEP_4) | instskip(NEXT) | instid1(VALU_DEP_1)
	v_add_co_u32 v33, s1, s10, v11
	v_add_co_ci_u32_e64 v34, s1, s11, v12, s1
	v_dual_mov_b32 v12, v4 :: v_dual_mov_b32 v11, v3
	s_branch .LBB53_15
.LBB53_14:                              ;   in Loop: Header=BB53_15 Depth=2
	s_or_b32 exec_lo, exec_lo, s24
	v_add_co_u32 v11, s1, v11, 8
	s_delay_alu instid0(VALU_DEP_1) | instskip(NEXT) | instid1(VALU_DEP_1)
	v_add_co_ci_u32_e64 v12, s1, 0, v12, s1
	v_cmp_ge_i64_e64 s1, v[11:12], v[5:6]
	s_delay_alu instid0(VALU_DEP_1) | instskip(NEXT) | instid1(SALU_CYCLE_1)
	s_or_b32 s23, s1, s23
	s_and_not1_b32 exec_lo, exec_lo, s23
	s_cbranch_execz .LBB53_22
.LBB53_15:                              ;   Parent Loop BB53_12 Depth=1
                                        ; =>  This Loop Header: Depth=2
                                        ;       Child Loop BB53_21 Depth 3
	s_delay_alu instid0(VALU_DEP_1) | instskip(NEXT) | instid1(VALU_DEP_1)
	v_add_co_u32 v13, s1, v11, v23
	v_add_co_ci_u32_e64 v14, s1, 0, v12, s1
                                        ; implicit-def: $sgpr25
	s_delay_alu instid0(VALU_DEP_1) | instskip(NEXT) | instid1(VALU_DEP_1)
	v_cmp_ge_i64_e64 s1, v[13:14], v[5:6]
	s_and_saveexec_b32 s24, s1
	s_delay_alu instid0(SALU_CYCLE_1)
	s_xor_b32 s1, exec_lo, s24
	s_cbranch_execz .LBB53_17
; %bb.16:                               ;   in Loop: Header=BB53_15 Depth=2
	v_mov_b32_e32 v2, v1
	s_mov_b32 s25, 0
                                        ; implicit-def: $vgpr13_vgpr14
	ds_store_b64 v25, v[1:2]
.LBB53_17:                              ;   in Loop: Header=BB53_15 Depth=2
	s_or_saveexec_b32 s24, s1
	v_dual_mov_b32 v15, s25 :: v_dual_mov_b32 v16, s25
	v_dual_mov_b32 v17, s25 :: v_dual_mov_b32 v18, s25
	s_xor_b32 exec_lo, exec_lo, s24
	s_cbranch_execz .LBB53_19
; %bb.18:                               ;   in Loop: Header=BB53_15 Depth=2
	v_lshlrev_b64 v[15:16], 2, v[13:14]
	v_lshlrev_b64 v[13:14], 3, v[13:14]
	s_delay_alu instid0(VALU_DEP_2) | instskip(NEXT) | instid1(VALU_DEP_3)
	v_or_b32_e32 v16, v16, v8
	v_or_b32_e32 v15, v15, v7
	s_delay_alu instid0(VALU_DEP_3) | instskip(NEXT) | instid1(VALU_DEP_1)
	v_add_co_u32 v13, s1, s6, v13
	v_add_co_ci_u32_e64 v14, s1, s7, v14, s1
	s_delay_alu instid0(VALU_DEP_4) | instskip(NEXT) | instid1(VALU_DEP_4)
	v_or_b32_e32 v18, 0, v16
	v_or_b32_e32 v17, s21, v15
	v_lshlrev_b64 v[15:16], 3, v[15:16]
	global_load_b64 v[13:14], v[13:14], off
	v_lshlrev_b64 v[17:18], 3, v[17:18]
	v_add_co_u32 v15, s1, s8, v15
	s_delay_alu instid0(VALU_DEP_1) | instskip(NEXT) | instid1(VALU_DEP_3)
	v_add_co_ci_u32_e64 v16, s1, s9, v16, s1
	v_add_co_u32 v17, s1, s8, v17
	s_delay_alu instid0(VALU_DEP_1)
	v_add_co_ci_u32_e64 v18, s1, s9, v18, s1
	s_clause 0x1
	global_load_b64 v[15:16], v[15:16], off
	global_load_b64 v[17:18], v[17:18], off
	s_waitcnt vmcnt(2)
	v_sub_co_u32 v13, s1, v13, s16
	s_delay_alu instid0(VALU_DEP_1) | instskip(NEXT) | instid1(VALU_DEP_1)
	v_subrev_co_ci_u32_e64 v14, s1, 0, v14, s1
	v_lshlrev_b64 v[13:14], 1, v[13:14]
	ds_store_b64 v25, v[13:14]
.LBB53_19:                              ;   in Loop: Header=BB53_15 Depth=2
	s_or_b32 exec_lo, exec_lo, s24
	s_waitcnt vmcnt(0)
	ds_store_2addr_b64 v26, v[15:16], v[17:18] offset1:1
	s_waitcnt lgkmcnt(0)
	s_waitcnt_vscnt null, 0x0
	s_barrier
	buffer_gl0_inv
	s_and_saveexec_b32 s24, vcc_lo
	s_cbranch_execz .LBB53_14
; %bb.20:                               ;   in Loop: Header=BB53_15 Depth=2
	v_mov_b32_e32 v2, v24
	s_mov_b32 s25, 0
.LBB53_21:                              ;   Parent Loop BB53_12 Depth=1
                                        ;     Parent Loop BB53_15 Depth=2
                                        ; =>    This Inner Loop Header: Depth=3
	s_delay_alu instid0(SALU_CYCLE_1) | instskip(SKIP_1) | instid1(SALU_CYCLE_1)
	v_add_nc_u32_e32 v13, s25, v0
	s_add_i32 s25, s25, 16
	s_cmp_lg_u32 s25, 64
	ds_load_b128 v[13:16], v13
	s_waitcnt lgkmcnt(0)
	v_mul_lo_u32 v14, v14, s2
	v_mul_lo_u32 v35, v13, s3
	v_mad_u64_u32 v[17:18], null, v13, s2, 0
	v_mul_lo_u32 v36, v16, s2
	v_mul_lo_u32 v37, v15, s3
	s_delay_alu instid0(VALU_DEP_3) | instskip(NEXT) | instid1(VALU_DEP_1)
	v_add3_u32 v18, v18, v35, v14
	v_lshlrev_b64 v[13:14], 3, v[17:18]
	v_mad_u64_u32 v[16:17], null, v15, s2, 0
	s_delay_alu instid0(VALU_DEP_2) | instskip(NEXT) | instid1(VALU_DEP_1)
	v_add_co_u32 v13, s1, v33, v13
	v_add_co_ci_u32_e64 v14, s1, v34, v14, s1
	s_delay_alu instid0(VALU_DEP_3) | instskip(SKIP_2) | instid1(VALU_DEP_1)
	v_add3_u32 v17, v17, v37, v36
	global_load_b64 v[39:40], v[13:14], off
	v_add_co_u32 v13, s1, v13, s12
	v_add_co_ci_u32_e64 v14, s1, s13, v14, s1
	v_lshlrev_b64 v[15:16], 3, v[16:17]
	global_load_b64 v[17:18], v[13:14], off
	v_add_co_u32 v13, s1, v33, v15
	s_delay_alu instid0(VALU_DEP_1) | instskip(SKIP_2) | instid1(VALU_DEP_1)
	v_add_co_ci_u32_e64 v14, s1, v34, v16, s1
	global_load_b64 v[41:42], v[13:14], off
	v_add_co_u32 v13, s1, v13, s12
	v_add_co_ci_u32_e64 v14, s1, s13, v14, s1
	global_load_b64 v[43:44], v[13:14], off
	ds_load_b128 v[13:16], v2
	ds_load_2addr_b64 v[35:38], v2 offset0:3 offset1:4
	s_waitcnt vmcnt(3) lgkmcnt(1)
	v_dual_fmac_f32 v31, v14, v39 :: v_dual_add_nc_u32 v2, 48, v2
	s_delay_alu instid0(VALU_DEP_1) | instskip(SKIP_1) | instid1(VALU_DEP_1)
	v_fmac_f32_e32 v31, v13, v40
	s_waitcnt vmcnt(2)
	v_dual_fmac_f32 v32, v13, v39 :: v_dual_fmac_f32 v31, v16, v17
	s_delay_alu instid0(VALU_DEP_1) | instskip(NEXT) | instid1(VALU_DEP_2)
	v_fma_f32 v14, -v14, v40, v32
	v_fmac_f32_e32 v31, v15, v18
	s_delay_alu instid0(VALU_DEP_2) | instskip(SKIP_1) | instid1(VALU_DEP_2)
	v_fmac_f32_e32 v14, v15, v17
	s_waitcnt vmcnt(1) lgkmcnt(0)
	v_fmac_f32_e32 v31, v36, v41
	s_delay_alu instid0(VALU_DEP_2) | instskip(NEXT) | instid1(VALU_DEP_2)
	v_fma_f32 v13, -v16, v18, v14
	v_fmac_f32_e32 v31, v35, v42
	s_delay_alu instid0(VALU_DEP_2) | instskip(SKIP_1) | instid1(VALU_DEP_2)
	v_fmac_f32_e32 v13, v35, v41
	s_waitcnt vmcnt(0)
	v_fmac_f32_e32 v31, v38, v43
	s_delay_alu instid0(VALU_DEP_2) | instskip(NEXT) | instid1(VALU_DEP_2)
	v_fma_f32 v13, -v36, v42, v13
	v_fmac_f32_e32 v31, v37, v44
	s_delay_alu instid0(VALU_DEP_2) | instskip(NEXT) | instid1(VALU_DEP_1)
	v_fmac_f32_e32 v13, v37, v43
	v_fma_f32 v32, -v38, v44, v13
	s_cbranch_scc1 .LBB53_21
	s_branch .LBB53_14
.LBB53_22:                              ;   in Loop: Header=BB53_12 Depth=1
	s_or_b32 exec_lo, exec_lo, s23
.LBB53_23:                              ;   in Loop: Header=BB53_12 Depth=1
	s_delay_alu instid0(SALU_CYCLE_1) | instskip(NEXT) | instid1(SALU_CYCLE_1)
	s_or_b32 exec_lo, exec_lo, s22
	s_mov_b32 s1, exec_lo
	v_cmpx_gt_i64_e64 s[18:19], v[9:10]
	s_cbranch_execz .LBB53_11
; %bb.24:                               ;   in Loop: Header=BB53_12 Depth=1
	s_and_saveexec_b32 s22, s17
	s_delay_alu instid0(SALU_CYCLE_1)
	s_xor_b32 s22, exec_lo, s22
	s_cbranch_execz .LBB53_29
; %bb.25:                               ;   in Loop: Header=BB53_12 Depth=1
	s_and_b32 vcc_lo, exec_lo, s20
	s_mov_b32 s23, -1
	s_cbranch_vccz .LBB53_27
; %bb.26:                               ;   in Loop: Header=BB53_12 Depth=1
	v_lshlrev_b64 v[11:12], 3, v[9:10]
	v_mul_f32_e64 v2, v31, -v20
	v_mul_f32_e32 v16, v31, v19
	s_mov_b32 s23, 0
	s_delay_alu instid0(VALU_DEP_2) | instskip(NEXT) | instid1(VALU_DEP_4)
	v_fmac_f32_e32 v2, v19, v32
	v_add_co_u32 v11, vcc_lo, v29, v11
	v_add_co_ci_u32_e32 v12, vcc_lo, v30, v12, vcc_lo
	v_fmac_f32_e32 v16, v20, v32
	global_load_b64 v[13:14], v[11:12], off
	s_waitcnt vmcnt(0)
	v_fmac_f32_e32 v2, v21, v13
	v_fmac_f32_e32 v16, v22, v13
	s_delay_alu instid0(VALU_DEP_2) | instskip(NEXT) | instid1(VALU_DEP_2)
	v_fma_f32 v15, -v22, v14, v2
	v_fmac_f32_e32 v16, v21, v14
	global_store_b64 v[11:12], v[15:16], off
.LBB53_27:                              ;   in Loop: Header=BB53_12 Depth=1
	s_and_not1_b32 vcc_lo, exec_lo, s23
	s_cbranch_vccnz .LBB53_29
; %bb.28:                               ;   in Loop: Header=BB53_12 Depth=1
	v_mul_lo_u32 v2, v10, s14
	v_mul_lo_u32 v12, v9, s15
	v_mad_u64_u32 v[10:11], null, v9, s14, 0
	v_mul_f32_e32 v14, v31, v19
	s_delay_alu instid0(VALU_DEP_1) | instskip(NEXT) | instid1(VALU_DEP_3)
	v_fmac_f32_e32 v14, v20, v32
	v_add3_u32 v11, v11, v12, v2
	v_mul_f32_e64 v2, v31, -v20
                                        ; implicit-def: $vgpr31
	s_delay_alu instid0(VALU_DEP_2) | instskip(NEXT) | instid1(VALU_DEP_2)
	v_lshlrev_b64 v[9:10], 3, v[10:11]
	v_fmac_f32_e32 v2, v19, v32
                                        ; implicit-def: $vgpr32
	s_delay_alu instid0(VALU_DEP_2) | instskip(NEXT) | instid1(VALU_DEP_3)
	v_add_co_u32 v9, vcc_lo, v27, v9
	v_add_co_ci_u32_e32 v10, vcc_lo, v28, v10, vcc_lo
	global_load_b64 v[11:12], v[9:10], off
	s_waitcnt vmcnt(0)
	v_fmac_f32_e32 v2, v21, v11
	v_fmac_f32_e32 v14, v22, v11
	s_delay_alu instid0(VALU_DEP_2) | instskip(NEXT) | instid1(VALU_DEP_2)
	v_fma_f32 v13, -v22, v12, v2
	v_fmac_f32_e32 v14, v21, v12
	global_store_b64 v[9:10], v[13:14], off
                                        ; implicit-def: $vgpr9_vgpr10
.LBB53_29:                              ;   in Loop: Header=BB53_12 Depth=1
	s_and_not1_saveexec_b32 s22, s22
	s_cbranch_execz .LBB53_11
; %bb.30:                               ;   in Loop: Header=BB53_12 Depth=1
	v_mul_f32_e64 v11, v31, -v20
	v_mul_f32_e32 v12, v31, v19
	s_and_b32 vcc_lo, exec_lo, s20
	s_mov_b32 s22, -1
	s_delay_alu instid0(VALU_DEP_2) | instskip(NEXT) | instid1(VALU_DEP_2)
	v_fmac_f32_e32 v11, v19, v32
	v_fmac_f32_e32 v12, v20, v32
	s_cbranch_vccz .LBB53_32
; %bb.31:                               ;   in Loop: Header=BB53_12 Depth=1
	v_lshlrev_b64 v[13:14], 3, v[9:10]
	s_mov_b32 s22, 0
	s_delay_alu instid0(VALU_DEP_1) | instskip(NEXT) | instid1(VALU_DEP_2)
	v_add_co_u32 v13, vcc_lo, v29, v13
	v_add_co_ci_u32_e32 v14, vcc_lo, v30, v14, vcc_lo
	global_store_b64 v[13:14], v[11:12], off
.LBB53_32:                              ;   in Loop: Header=BB53_12 Depth=1
	s_and_not1_b32 vcc_lo, exec_lo, s22
	s_cbranch_vccnz .LBB53_11
; %bb.33:                               ;   in Loop: Header=BB53_12 Depth=1
	v_mul_lo_u32 v2, v10, s14
	v_mul_lo_u32 v10, v9, s15
	v_mad_u64_u32 v[13:14], null, v9, s14, 0
	s_delay_alu instid0(VALU_DEP_1) | instskip(NEXT) | instid1(VALU_DEP_1)
	v_add3_u32 v14, v14, v10, v2
	v_lshlrev_b64 v[9:10], 3, v[13:14]
	s_delay_alu instid0(VALU_DEP_1) | instskip(NEXT) | instid1(VALU_DEP_2)
	v_add_co_u32 v9, vcc_lo, v27, v9
	v_add_co_ci_u32_e32 v10, vcc_lo, v28, v10, vcc_lo
	global_store_b64 v[9:10], v[11:12], off
	s_branch .LBB53_11
.LBB53_34:
	s_nop 0
	s_sendmsg sendmsg(MSG_DEALLOC_VGPRS)
	s_endpgm
.LBB53_35:
	v_dual_mov_b32 v1, s4 :: v_dual_mov_b32 v2, s5
	flat_load_b32 v19, v[1:2]
	v_cndmask_b32_e64 v1, 0, 1, s6
	v_mov_b32_e32 v20, s5
	s_and_not1_b32 vcc_lo, exec_lo, s6
	s_cbranch_vccnz .LBB53_2
.LBB53_36:
	v_dual_mov_b32 v2, s4 :: v_dual_mov_b32 v3, s5
	flat_load_b32 v20, v[2:3] offset:4
	v_cmp_ne_u32_e32 vcc_lo, 1, v1
	v_mov_b32_e32 v21, s2
	s_cbranch_vccnz .LBB53_3
.LBB53_37:
	v_dual_mov_b32 v2, s2 :: v_dual_mov_b32 v3, s3
	flat_load_b32 v21, v[2:3]
	v_cmp_ne_u32_e32 vcc_lo, 1, v1
	v_mov_b32_e32 v22, s3
	s_cbranch_vccz .LBB53_4
	s_branch .LBB53_5
	.section	.rodata,"a",@progbits
	.p2align	6, 0x0
	.amdhsa_kernel _ZN9rocsparseL29bsrmmnt_small_blockdim_kernelILj64ELj8ELj2Ell21rocsparse_complex_numIfES2_S2_S2_EEv20rocsparse_direction_T3_S4_llNS_24const_host_device_scalarIT7_EEPKT2_PKS4_PKT4_PKT5_llS7_PT6_ll16rocsparse_order_21rocsparse_index_base_b
		.amdhsa_group_segment_fixed_size 2048
		.amdhsa_private_segment_fixed_size 0
		.amdhsa_kernarg_size 400
		.amdhsa_user_sgpr_count 15
		.amdhsa_user_sgpr_dispatch_ptr 0
		.amdhsa_user_sgpr_queue_ptr 0
		.amdhsa_user_sgpr_kernarg_segment_ptr 1
		.amdhsa_user_sgpr_dispatch_id 0
		.amdhsa_user_sgpr_private_segment_size 0
		.amdhsa_wavefront_size32 1
		.amdhsa_uses_dynamic_stack 0
		.amdhsa_enable_private_segment 0
		.amdhsa_system_sgpr_workgroup_id_x 1
		.amdhsa_system_sgpr_workgroup_id_y 0
		.amdhsa_system_sgpr_workgroup_id_z 0
		.amdhsa_system_sgpr_workgroup_info 0
		.amdhsa_system_vgpr_workitem_id 0
		.amdhsa_next_free_vgpr 45
		.amdhsa_next_free_sgpr 26
		.amdhsa_reserve_vcc 1
		.amdhsa_float_round_mode_32 0
		.amdhsa_float_round_mode_16_64 0
		.amdhsa_float_denorm_mode_32 3
		.amdhsa_float_denorm_mode_16_64 3
		.amdhsa_dx10_clamp 1
		.amdhsa_ieee_mode 1
		.amdhsa_fp16_overflow 0
		.amdhsa_workgroup_processor_mode 1
		.amdhsa_memory_ordered 1
		.amdhsa_forward_progress 0
		.amdhsa_shared_vgpr_count 0
		.amdhsa_exception_fp_ieee_invalid_op 0
		.amdhsa_exception_fp_denorm_src 0
		.amdhsa_exception_fp_ieee_div_zero 0
		.amdhsa_exception_fp_ieee_overflow 0
		.amdhsa_exception_fp_ieee_underflow 0
		.amdhsa_exception_fp_ieee_inexact 0
		.amdhsa_exception_int_div_zero 0
	.end_amdhsa_kernel
	.section	.text._ZN9rocsparseL29bsrmmnt_small_blockdim_kernelILj64ELj8ELj2Ell21rocsparse_complex_numIfES2_S2_S2_EEv20rocsparse_direction_T3_S4_llNS_24const_host_device_scalarIT7_EEPKT2_PKS4_PKT4_PKT5_llS7_PT6_ll16rocsparse_order_21rocsparse_index_base_b,"axG",@progbits,_ZN9rocsparseL29bsrmmnt_small_blockdim_kernelILj64ELj8ELj2Ell21rocsparse_complex_numIfES2_S2_S2_EEv20rocsparse_direction_T3_S4_llNS_24const_host_device_scalarIT7_EEPKT2_PKS4_PKT4_PKT5_llS7_PT6_ll16rocsparse_order_21rocsparse_index_base_b,comdat
.Lfunc_end53:
	.size	_ZN9rocsparseL29bsrmmnt_small_blockdim_kernelILj64ELj8ELj2Ell21rocsparse_complex_numIfES2_S2_S2_EEv20rocsparse_direction_T3_S4_llNS_24const_host_device_scalarIT7_EEPKT2_PKS4_PKT4_PKT5_llS7_PT6_ll16rocsparse_order_21rocsparse_index_base_b, .Lfunc_end53-_ZN9rocsparseL29bsrmmnt_small_blockdim_kernelILj64ELj8ELj2Ell21rocsparse_complex_numIfES2_S2_S2_EEv20rocsparse_direction_T3_S4_llNS_24const_host_device_scalarIT7_EEPKT2_PKS4_PKT4_PKT5_llS7_PT6_ll16rocsparse_order_21rocsparse_index_base_b
                                        ; -- End function
	.section	.AMDGPU.csdata,"",@progbits
; Kernel info:
; codeLenInByte = 2012
; NumSgprs: 28
; NumVgprs: 45
; ScratchSize: 0
; MemoryBound: 0
; FloatMode: 240
; IeeeMode: 1
; LDSByteSize: 2048 bytes/workgroup (compile time only)
; SGPRBlocks: 3
; VGPRBlocks: 5
; NumSGPRsForWavesPerEU: 28
; NumVGPRsForWavesPerEU: 45
; Occupancy: 16
; WaveLimiterHint : 1
; COMPUTE_PGM_RSRC2:SCRATCH_EN: 0
; COMPUTE_PGM_RSRC2:USER_SGPR: 15
; COMPUTE_PGM_RSRC2:TRAP_HANDLER: 0
; COMPUTE_PGM_RSRC2:TGID_X_EN: 1
; COMPUTE_PGM_RSRC2:TGID_Y_EN: 0
; COMPUTE_PGM_RSRC2:TGID_Z_EN: 0
; COMPUTE_PGM_RSRC2:TIDIG_COMP_CNT: 0
	.section	.text._ZN9rocsparseL29bsrmmnt_small_blockdim_kernelILj64ELj16ELj2Ell21rocsparse_complex_numIfES2_S2_S2_EEv20rocsparse_direction_T3_S4_llNS_24const_host_device_scalarIT7_EEPKT2_PKS4_PKT4_PKT5_llS7_PT6_ll16rocsparse_order_21rocsparse_index_base_b,"axG",@progbits,_ZN9rocsparseL29bsrmmnt_small_blockdim_kernelILj64ELj16ELj2Ell21rocsparse_complex_numIfES2_S2_S2_EEv20rocsparse_direction_T3_S4_llNS_24const_host_device_scalarIT7_EEPKT2_PKS4_PKT4_PKT5_llS7_PT6_ll16rocsparse_order_21rocsparse_index_base_b,comdat
	.globl	_ZN9rocsparseL29bsrmmnt_small_blockdim_kernelILj64ELj16ELj2Ell21rocsparse_complex_numIfES2_S2_S2_EEv20rocsparse_direction_T3_S4_llNS_24const_host_device_scalarIT7_EEPKT2_PKS4_PKT4_PKT5_llS7_PT6_ll16rocsparse_order_21rocsparse_index_base_b ; -- Begin function _ZN9rocsparseL29bsrmmnt_small_blockdim_kernelILj64ELj16ELj2Ell21rocsparse_complex_numIfES2_S2_S2_EEv20rocsparse_direction_T3_S4_llNS_24const_host_device_scalarIT7_EEPKT2_PKS4_PKT4_PKT5_llS7_PT6_ll16rocsparse_order_21rocsparse_index_base_b
	.p2align	8
	.type	_ZN9rocsparseL29bsrmmnt_small_blockdim_kernelILj64ELj16ELj2Ell21rocsparse_complex_numIfES2_S2_S2_EEv20rocsparse_direction_T3_S4_llNS_24const_host_device_scalarIT7_EEPKT2_PKS4_PKT4_PKT5_llS7_PT6_ll16rocsparse_order_21rocsparse_index_base_b,@function
_ZN9rocsparseL29bsrmmnt_small_blockdim_kernelILj64ELj16ELj2Ell21rocsparse_complex_numIfES2_S2_S2_EEv20rocsparse_direction_T3_S4_llNS_24const_host_device_scalarIT7_EEPKT2_PKS4_PKT4_PKT5_llS7_PT6_ll16rocsparse_order_21rocsparse_index_base_b: ; @_ZN9rocsparseL29bsrmmnt_small_blockdim_kernelILj64ELj16ELj2Ell21rocsparse_complex_numIfES2_S2_S2_EEv20rocsparse_direction_T3_S4_llNS_24const_host_device_scalarIT7_EEPKT2_PKS4_PKT4_PKT5_llS7_PT6_ll16rocsparse_order_21rocsparse_index_base_b
; %bb.0:
	s_clause 0x2
	s_load_b128 s[20:23], s[0:1], 0x80
	s_load_b64 s[4:5], s[0:1], 0x28
	s_load_b64 s[2:3], s[0:1], 0x60
	s_waitcnt lgkmcnt(0)
	s_bitcmp1_b32 s22, 0
	v_mov_b32_e32 v19, s4
	s_cselect_b32 s6, -1, 0
	s_delay_alu instid0(SALU_CYCLE_1)
	s_and_b32 vcc_lo, exec_lo, s6
	s_xor_b32 s6, s6, -1
	s_cbranch_vccz .LBB54_35
; %bb.1:
	v_cndmask_b32_e64 v1, 0, 1, s6
	v_mov_b32_e32 v20, s5
	s_and_not1_b32 vcc_lo, exec_lo, s6
	s_cbranch_vccz .LBB54_36
.LBB54_2:
	s_delay_alu instid0(VALU_DEP_2)
	v_cmp_ne_u32_e32 vcc_lo, 1, v1
	v_mov_b32_e32 v21, s2
	s_cbranch_vccz .LBB54_37
.LBB54_3:
	v_cmp_ne_u32_e32 vcc_lo, 1, v1
	v_mov_b32_e32 v22, s3
	s_cbranch_vccnz .LBB54_5
.LBB54_4:
	v_dual_mov_b32 v1, s2 :: v_dual_mov_b32 v2, s3
	flat_load_b32 v22, v[1:2] offset:4
.LBB54_5:
	s_waitcnt vmcnt(0) lgkmcnt(0)
	v_cmp_eq_f32_e32 vcc_lo, 0, v19
	v_cmp_eq_f32_e64 s2, 0, v20
	s_delay_alu instid0(VALU_DEP_1)
	s_and_b32 s4, vcc_lo, s2
	s_mov_b32 s2, -1
	s_and_saveexec_b32 s3, s4
; %bb.6:
	v_cmp_neq_f32_e32 vcc_lo, 1.0, v21
	v_cmp_neq_f32_e64 s2, 0, v22
	s_delay_alu instid0(VALU_DEP_1) | instskip(NEXT) | instid1(SALU_CYCLE_1)
	s_or_b32 s2, vcc_lo, s2
	s_or_not1_b32 s2, s2, exec_lo
; %bb.7:
	s_or_b32 exec_lo, exec_lo, s3
	s_and_saveexec_b32 s3, s2
	s_cbranch_execz .LBB54_34
; %bb.8:
	s_clause 0x1
	s_load_b32 s2, s[0:1], 0x9c
	s_load_b128 s[16:19], s[0:1], 0x8
	v_mov_b32_e32 v3, 0
	s_waitcnt lgkmcnt(0)
	s_and_b32 s2, s2, 0xffff
	s_delay_alu instid0(SALU_CYCLE_1) | instskip(NEXT) | instid1(VALU_DEP_1)
	v_mad_u64_u32 v[1:2], null, s15, s2, v[0:1]
	v_lshrrev_b32_e32 v2, 5, v1
	s_delay_alu instid0(VALU_DEP_1)
	v_cmp_gt_i64_e32 vcc_lo, s[16:17], v[2:3]
	s_and_b32 exec_lo, exec_lo, vcc_lo
	s_cbranch_execz .LBB54_34
; %bb.9:
	v_cmp_lt_i64_e64 s2, s[18:19], 1
	s_delay_alu instid0(VALU_DEP_1)
	s_and_b32 vcc_lo, exec_lo, s2
	s_cbranch_vccnz .LBB54_34
; %bb.10:
	s_load_b256 s[4:11], s[0:1], 0x30
	v_lshlrev_b32_e32 v2, 3, v2
	v_lshrrev_b32_e32 v5, 4, v1
	v_bfe_u32 v11, v1, 4, 1
	v_mov_b32_e32 v1, 0
	s_clause 0x2
	s_load_b128 s[12:15], s[0:1], 0x68
	s_load_b64 s[2:3], s[0:1], 0x50
	s_load_b32 s1, s[0:1], 0x0
	v_lshrrev_b32_e32 v6, 4, v0
	v_cmp_neq_f32_e32 vcc_lo, 0, v21
	v_cmp_neq_f32_e64 s0, 0, v22
	v_mov_b32_e32 v12, v1
	s_mov_b32 s16, s21
	v_mul_u32_u24_e32 v24, 0x180, v6
	s_delay_alu instid0(VALU_DEP_3)
	s_or_b32 s17, vcc_lo, s0
	s_cmp_lg_u32 s20, 1
	s_cselect_b32 s20, -1, 0
	s_waitcnt lgkmcnt(0)
	global_load_b128 v[7:10], v2, s[4:5]
	s_mov_b64 s[4:5], 0
	v_mad_u64_u32 v[2:3], null, v5, s14, 0
	v_and_b32_e32 v23, 15, v0
	s_cmp_eq_u32 s1, 0
	s_cselect_b32 s1, -1, 0
	s_delay_alu instid0(SALU_CYCLE_1) | instskip(NEXT) | instid1(VALU_DEP_3)
	v_cndmask_b32_e64 v13, 0, 1, s1
	v_mov_b32_e32 v0, v3
	s_and_b32 s1, s1, exec_lo
	s_delay_alu instid0(VALU_DEP_1) | instskip(SKIP_3) | instid1(VALU_DEP_3)
	v_mad_u64_u32 v[3:4], null, v5, s15, v[0:1]
	v_mul_u32_u24_e32 v4, 3, v23
	v_lshlrev_b32_e32 v5, 3, v5
	v_lshl_or_b32 v0, v6, 7, 0x600
	v_lshlrev_b32_e32 v4, 3, v4
	v_lshlrev_b64 v[2:3], 3, v[2:3]
	s_delay_alu instid0(VALU_DEP_4) | instskip(NEXT) | instid1(VALU_DEP_1)
	v_add_co_u32 v27, s0, s12, v5
	v_add_co_ci_u32_e64 v28, null, s13, 0, s0
	s_delay_alu instid0(VALU_DEP_4) | instskip(NEXT) | instid1(VALU_DEP_4)
	v_mad_u32_u24 v26, 0x180, v6, v4
	v_add_co_u32 v29, vcc_lo, s12, v2
	v_add_co_ci_u32_e32 v30, vcc_lo, s13, v3, vcc_lo
	v_lshl_or_b32 v25, v23, 3, v0
	s_waitcnt vmcnt(0)
	v_sub_co_u32 v3, vcc_lo, v7, s21
	v_subrev_co_ci_u32_e32 v4, vcc_lo, 0, v8, vcc_lo
	v_sub_co_u32 v5, vcc_lo, v9, s21
	v_cmp_lt_i64_e64 s0, v[7:8], v[9:10]
	v_lshlrev_b64 v[7:8], v13, v[11:12]
	v_subrev_co_ci_u32_e32 v6, vcc_lo, 0, v10, vcc_lo
	s_cselect_b32 s21, 1, 2
	s_lshl_b64 s[12:13], s[2:3], 3
	s_branch .LBB54_12
.LBB54_11:                              ;   in Loop: Header=BB54_12 Depth=1
	s_or_b32 exec_lo, exec_lo, s1
	s_add_u32 s4, s4, 16
	s_addc_u32 s5, s5, 0
	s_delay_alu instid0(SALU_CYCLE_1) | instskip(NEXT) | instid1(VALU_DEP_1)
	v_cmp_lt_i64_e64 s1, s[4:5], s[18:19]
	s_and_b32 vcc_lo, exec_lo, s1
	s_cbranch_vccz .LBB54_34
.LBB54_12:                              ; =>This Loop Header: Depth=1
                                        ;     Child Loop BB54_15 Depth 2
                                        ;       Child Loop BB54_21 Depth 3
	v_or_b32_e64 v10, s5, 0
	v_or_b32_e32 v9, s4, v23
	v_mov_b32_e32 v31, v1
	v_mov_b32_e32 v32, v1
	s_and_saveexec_b32 s22, s0
	s_cbranch_execz .LBB54_23
; %bb.13:                               ;   in Loop: Header=BB54_12 Depth=1
	v_lshlrev_b64 v[11:12], 3, v[9:10]
	v_cmp_gt_i64_e32 vcc_lo, s[18:19], v[9:10]
	v_mov_b32_e32 v31, 0
	s_mov_b32 s23, 0
	v_mov_b32_e32 v32, 0
	s_delay_alu instid0(VALU_DEP_4) | instskip(NEXT) | instid1(VALU_DEP_1)
	v_add_co_u32 v33, s1, s10, v11
	v_add_co_ci_u32_e64 v34, s1, s11, v12, s1
	v_dual_mov_b32 v12, v4 :: v_dual_mov_b32 v11, v3
	s_branch .LBB54_15
.LBB54_14:                              ;   in Loop: Header=BB54_15 Depth=2
	s_or_b32 exec_lo, exec_lo, s24
	v_add_co_u32 v11, s1, v11, 16
	s_delay_alu instid0(VALU_DEP_1) | instskip(NEXT) | instid1(VALU_DEP_1)
	v_add_co_ci_u32_e64 v12, s1, 0, v12, s1
	v_cmp_ge_i64_e64 s1, v[11:12], v[5:6]
	s_delay_alu instid0(VALU_DEP_1) | instskip(NEXT) | instid1(SALU_CYCLE_1)
	s_or_b32 s23, s1, s23
	s_and_not1_b32 exec_lo, exec_lo, s23
	s_cbranch_execz .LBB54_22
.LBB54_15:                              ;   Parent Loop BB54_12 Depth=1
                                        ; =>  This Loop Header: Depth=2
                                        ;       Child Loop BB54_21 Depth 3
	s_delay_alu instid0(VALU_DEP_1) | instskip(NEXT) | instid1(VALU_DEP_1)
	v_add_co_u32 v13, s1, v11, v23
	v_add_co_ci_u32_e64 v14, s1, 0, v12, s1
                                        ; implicit-def: $sgpr25
	s_delay_alu instid0(VALU_DEP_1) | instskip(NEXT) | instid1(VALU_DEP_1)
	v_cmp_ge_i64_e64 s1, v[13:14], v[5:6]
	s_and_saveexec_b32 s24, s1
	s_delay_alu instid0(SALU_CYCLE_1)
	s_xor_b32 s1, exec_lo, s24
	s_cbranch_execz .LBB54_17
; %bb.16:                               ;   in Loop: Header=BB54_15 Depth=2
	v_mov_b32_e32 v2, v1
	s_mov_b32 s25, 0
                                        ; implicit-def: $vgpr13_vgpr14
	ds_store_b64 v25, v[1:2]
.LBB54_17:                              ;   in Loop: Header=BB54_15 Depth=2
	s_or_saveexec_b32 s24, s1
	v_dual_mov_b32 v15, s25 :: v_dual_mov_b32 v16, s25
	v_dual_mov_b32 v17, s25 :: v_dual_mov_b32 v18, s25
	s_xor_b32 exec_lo, exec_lo, s24
	s_cbranch_execz .LBB54_19
; %bb.18:                               ;   in Loop: Header=BB54_15 Depth=2
	v_lshlrev_b64 v[15:16], 2, v[13:14]
	v_lshlrev_b64 v[13:14], 3, v[13:14]
	s_delay_alu instid0(VALU_DEP_2) | instskip(NEXT) | instid1(VALU_DEP_3)
	v_or_b32_e32 v16, v16, v8
	v_or_b32_e32 v15, v15, v7
	s_delay_alu instid0(VALU_DEP_3) | instskip(NEXT) | instid1(VALU_DEP_1)
	v_add_co_u32 v13, s1, s6, v13
	v_add_co_ci_u32_e64 v14, s1, s7, v14, s1
	s_delay_alu instid0(VALU_DEP_4) | instskip(NEXT) | instid1(VALU_DEP_4)
	v_or_b32_e32 v18, 0, v16
	v_or_b32_e32 v17, s21, v15
	v_lshlrev_b64 v[15:16], 3, v[15:16]
	global_load_b64 v[13:14], v[13:14], off
	v_lshlrev_b64 v[17:18], 3, v[17:18]
	v_add_co_u32 v15, s1, s8, v15
	s_delay_alu instid0(VALU_DEP_1) | instskip(NEXT) | instid1(VALU_DEP_3)
	v_add_co_ci_u32_e64 v16, s1, s9, v16, s1
	v_add_co_u32 v17, s1, s8, v17
	s_delay_alu instid0(VALU_DEP_1)
	v_add_co_ci_u32_e64 v18, s1, s9, v18, s1
	s_clause 0x1
	global_load_b64 v[15:16], v[15:16], off
	global_load_b64 v[17:18], v[17:18], off
	s_waitcnt vmcnt(2)
	v_sub_co_u32 v13, s1, v13, s16
	s_delay_alu instid0(VALU_DEP_1) | instskip(NEXT) | instid1(VALU_DEP_1)
	v_subrev_co_ci_u32_e64 v14, s1, 0, v14, s1
	v_lshlrev_b64 v[13:14], 1, v[13:14]
	ds_store_b64 v25, v[13:14]
.LBB54_19:                              ;   in Loop: Header=BB54_15 Depth=2
	s_or_b32 exec_lo, exec_lo, s24
	s_waitcnt vmcnt(0)
	ds_store_2addr_b64 v26, v[15:16], v[17:18] offset1:1
	s_waitcnt lgkmcnt(0)
	s_waitcnt_vscnt null, 0x0
	s_barrier
	buffer_gl0_inv
	s_and_saveexec_b32 s24, vcc_lo
	s_cbranch_execz .LBB54_14
; %bb.20:                               ;   in Loop: Header=BB54_15 Depth=2
	v_mov_b32_e32 v2, v24
	s_mov_b32 s25, 0
.LBB54_21:                              ;   Parent Loop BB54_12 Depth=1
                                        ;     Parent Loop BB54_15 Depth=2
                                        ; =>    This Inner Loop Header: Depth=3
	s_delay_alu instid0(SALU_CYCLE_1) | instskip(SKIP_1) | instid1(SALU_CYCLE_1)
	v_add_nc_u32_e32 v13, s25, v0
	s_add_i32 s25, s25, 16
	s_cmpk_lg_i32 s25, 0x80
	ds_load_b128 v[13:16], v13
	s_waitcnt lgkmcnt(0)
	v_mul_lo_u32 v14, v14, s2
	v_mul_lo_u32 v35, v13, s3
	v_mad_u64_u32 v[17:18], null, v13, s2, 0
	v_mul_lo_u32 v36, v16, s2
	v_mul_lo_u32 v37, v15, s3
	s_delay_alu instid0(VALU_DEP_3) | instskip(NEXT) | instid1(VALU_DEP_1)
	v_add3_u32 v18, v18, v35, v14
	v_lshlrev_b64 v[13:14], 3, v[17:18]
	v_mad_u64_u32 v[16:17], null, v15, s2, 0
	s_delay_alu instid0(VALU_DEP_2) | instskip(NEXT) | instid1(VALU_DEP_1)
	v_add_co_u32 v13, s1, v33, v13
	v_add_co_ci_u32_e64 v14, s1, v34, v14, s1
	s_delay_alu instid0(VALU_DEP_3) | instskip(SKIP_2) | instid1(VALU_DEP_1)
	v_add3_u32 v17, v17, v37, v36
	global_load_b64 v[39:40], v[13:14], off
	v_add_co_u32 v13, s1, v13, s12
	v_add_co_ci_u32_e64 v14, s1, s13, v14, s1
	v_lshlrev_b64 v[15:16], 3, v[16:17]
	global_load_b64 v[17:18], v[13:14], off
	v_add_co_u32 v13, s1, v33, v15
	s_delay_alu instid0(VALU_DEP_1) | instskip(SKIP_2) | instid1(VALU_DEP_1)
	v_add_co_ci_u32_e64 v14, s1, v34, v16, s1
	global_load_b64 v[41:42], v[13:14], off
	v_add_co_u32 v13, s1, v13, s12
	v_add_co_ci_u32_e64 v14, s1, s13, v14, s1
	global_load_b64 v[43:44], v[13:14], off
	ds_load_b128 v[13:16], v2
	ds_load_2addr_b64 v[35:38], v2 offset0:3 offset1:4
	s_waitcnt vmcnt(3) lgkmcnt(1)
	v_dual_fmac_f32 v31, v14, v39 :: v_dual_add_nc_u32 v2, 48, v2
	s_delay_alu instid0(VALU_DEP_1) | instskip(SKIP_1) | instid1(VALU_DEP_1)
	v_fmac_f32_e32 v31, v13, v40
	s_waitcnt vmcnt(2)
	v_dual_fmac_f32 v32, v13, v39 :: v_dual_fmac_f32 v31, v16, v17
	s_delay_alu instid0(VALU_DEP_1) | instskip(NEXT) | instid1(VALU_DEP_2)
	v_fma_f32 v14, -v14, v40, v32
	v_fmac_f32_e32 v31, v15, v18
	s_delay_alu instid0(VALU_DEP_2) | instskip(SKIP_1) | instid1(VALU_DEP_2)
	v_fmac_f32_e32 v14, v15, v17
	s_waitcnt vmcnt(1) lgkmcnt(0)
	v_fmac_f32_e32 v31, v36, v41
	s_delay_alu instid0(VALU_DEP_2) | instskip(NEXT) | instid1(VALU_DEP_2)
	v_fma_f32 v13, -v16, v18, v14
	v_fmac_f32_e32 v31, v35, v42
	s_delay_alu instid0(VALU_DEP_2) | instskip(SKIP_1) | instid1(VALU_DEP_2)
	v_fmac_f32_e32 v13, v35, v41
	s_waitcnt vmcnt(0)
	v_fmac_f32_e32 v31, v38, v43
	s_delay_alu instid0(VALU_DEP_2) | instskip(NEXT) | instid1(VALU_DEP_2)
	v_fma_f32 v13, -v36, v42, v13
	v_fmac_f32_e32 v31, v37, v44
	s_delay_alu instid0(VALU_DEP_2) | instskip(NEXT) | instid1(VALU_DEP_1)
	v_fmac_f32_e32 v13, v37, v43
	v_fma_f32 v32, -v38, v44, v13
	s_cbranch_scc1 .LBB54_21
	s_branch .LBB54_14
.LBB54_22:                              ;   in Loop: Header=BB54_12 Depth=1
	s_or_b32 exec_lo, exec_lo, s23
.LBB54_23:                              ;   in Loop: Header=BB54_12 Depth=1
	s_delay_alu instid0(SALU_CYCLE_1) | instskip(NEXT) | instid1(SALU_CYCLE_1)
	s_or_b32 exec_lo, exec_lo, s22
	s_mov_b32 s1, exec_lo
	v_cmpx_gt_i64_e64 s[18:19], v[9:10]
	s_cbranch_execz .LBB54_11
; %bb.24:                               ;   in Loop: Header=BB54_12 Depth=1
	s_and_saveexec_b32 s22, s17
	s_delay_alu instid0(SALU_CYCLE_1)
	s_xor_b32 s22, exec_lo, s22
	s_cbranch_execz .LBB54_29
; %bb.25:                               ;   in Loop: Header=BB54_12 Depth=1
	s_and_b32 vcc_lo, exec_lo, s20
	s_mov_b32 s23, -1
	s_cbranch_vccz .LBB54_27
; %bb.26:                               ;   in Loop: Header=BB54_12 Depth=1
	v_lshlrev_b64 v[11:12], 3, v[9:10]
	v_mul_f32_e64 v2, v31, -v20
	v_mul_f32_e32 v16, v31, v19
	s_mov_b32 s23, 0
	s_delay_alu instid0(VALU_DEP_2) | instskip(NEXT) | instid1(VALU_DEP_4)
	v_fmac_f32_e32 v2, v19, v32
	v_add_co_u32 v11, vcc_lo, v29, v11
	v_add_co_ci_u32_e32 v12, vcc_lo, v30, v12, vcc_lo
	v_fmac_f32_e32 v16, v20, v32
	global_load_b64 v[13:14], v[11:12], off
	s_waitcnt vmcnt(0)
	v_fmac_f32_e32 v2, v21, v13
	v_fmac_f32_e32 v16, v22, v13
	s_delay_alu instid0(VALU_DEP_2) | instskip(NEXT) | instid1(VALU_DEP_2)
	v_fma_f32 v15, -v22, v14, v2
	v_fmac_f32_e32 v16, v21, v14
	global_store_b64 v[11:12], v[15:16], off
.LBB54_27:                              ;   in Loop: Header=BB54_12 Depth=1
	s_and_not1_b32 vcc_lo, exec_lo, s23
	s_cbranch_vccnz .LBB54_29
; %bb.28:                               ;   in Loop: Header=BB54_12 Depth=1
	v_mul_lo_u32 v2, v10, s14
	v_mul_lo_u32 v12, v9, s15
	v_mad_u64_u32 v[10:11], null, v9, s14, 0
	v_mul_f32_e32 v14, v31, v19
	s_delay_alu instid0(VALU_DEP_1) | instskip(NEXT) | instid1(VALU_DEP_3)
	v_fmac_f32_e32 v14, v20, v32
	v_add3_u32 v11, v11, v12, v2
	v_mul_f32_e64 v2, v31, -v20
                                        ; implicit-def: $vgpr31
	s_delay_alu instid0(VALU_DEP_2) | instskip(NEXT) | instid1(VALU_DEP_2)
	v_lshlrev_b64 v[9:10], 3, v[10:11]
	v_fmac_f32_e32 v2, v19, v32
                                        ; implicit-def: $vgpr32
	s_delay_alu instid0(VALU_DEP_2) | instskip(NEXT) | instid1(VALU_DEP_3)
	v_add_co_u32 v9, vcc_lo, v27, v9
	v_add_co_ci_u32_e32 v10, vcc_lo, v28, v10, vcc_lo
	global_load_b64 v[11:12], v[9:10], off
	s_waitcnt vmcnt(0)
	v_fmac_f32_e32 v2, v21, v11
	v_fmac_f32_e32 v14, v22, v11
	s_delay_alu instid0(VALU_DEP_2) | instskip(NEXT) | instid1(VALU_DEP_2)
	v_fma_f32 v13, -v22, v12, v2
	v_fmac_f32_e32 v14, v21, v12
	global_store_b64 v[9:10], v[13:14], off
                                        ; implicit-def: $vgpr9_vgpr10
.LBB54_29:                              ;   in Loop: Header=BB54_12 Depth=1
	s_and_not1_saveexec_b32 s22, s22
	s_cbranch_execz .LBB54_11
; %bb.30:                               ;   in Loop: Header=BB54_12 Depth=1
	v_mul_f32_e64 v11, v31, -v20
	v_mul_f32_e32 v12, v31, v19
	s_and_b32 vcc_lo, exec_lo, s20
	s_mov_b32 s22, -1
	s_delay_alu instid0(VALU_DEP_2) | instskip(NEXT) | instid1(VALU_DEP_2)
	v_fmac_f32_e32 v11, v19, v32
	v_fmac_f32_e32 v12, v20, v32
	s_cbranch_vccz .LBB54_32
; %bb.31:                               ;   in Loop: Header=BB54_12 Depth=1
	v_lshlrev_b64 v[13:14], 3, v[9:10]
	s_mov_b32 s22, 0
	s_delay_alu instid0(VALU_DEP_1) | instskip(NEXT) | instid1(VALU_DEP_2)
	v_add_co_u32 v13, vcc_lo, v29, v13
	v_add_co_ci_u32_e32 v14, vcc_lo, v30, v14, vcc_lo
	global_store_b64 v[13:14], v[11:12], off
.LBB54_32:                              ;   in Loop: Header=BB54_12 Depth=1
	s_and_not1_b32 vcc_lo, exec_lo, s22
	s_cbranch_vccnz .LBB54_11
; %bb.33:                               ;   in Loop: Header=BB54_12 Depth=1
	v_mul_lo_u32 v2, v10, s14
	v_mul_lo_u32 v10, v9, s15
	v_mad_u64_u32 v[13:14], null, v9, s14, 0
	s_delay_alu instid0(VALU_DEP_1) | instskip(NEXT) | instid1(VALU_DEP_1)
	v_add3_u32 v14, v14, v10, v2
	v_lshlrev_b64 v[9:10], 3, v[13:14]
	s_delay_alu instid0(VALU_DEP_1) | instskip(NEXT) | instid1(VALU_DEP_2)
	v_add_co_u32 v9, vcc_lo, v27, v9
	v_add_co_ci_u32_e32 v10, vcc_lo, v28, v10, vcc_lo
	global_store_b64 v[9:10], v[11:12], off
	s_branch .LBB54_11
.LBB54_34:
	s_nop 0
	s_sendmsg sendmsg(MSG_DEALLOC_VGPRS)
	s_endpgm
.LBB54_35:
	v_dual_mov_b32 v1, s4 :: v_dual_mov_b32 v2, s5
	flat_load_b32 v19, v[1:2]
	v_cndmask_b32_e64 v1, 0, 1, s6
	v_mov_b32_e32 v20, s5
	s_and_not1_b32 vcc_lo, exec_lo, s6
	s_cbranch_vccnz .LBB54_2
.LBB54_36:
	v_dual_mov_b32 v2, s4 :: v_dual_mov_b32 v3, s5
	flat_load_b32 v20, v[2:3] offset:4
	v_cmp_ne_u32_e32 vcc_lo, 1, v1
	v_mov_b32_e32 v21, s2
	s_cbranch_vccnz .LBB54_3
.LBB54_37:
	v_dual_mov_b32 v2, s2 :: v_dual_mov_b32 v3, s3
	flat_load_b32 v21, v[2:3]
	v_cmp_ne_u32_e32 vcc_lo, 1, v1
	v_mov_b32_e32 v22, s3
	s_cbranch_vccz .LBB54_4
	s_branch .LBB54_5
	.section	.rodata,"a",@progbits
	.p2align	6, 0x0
	.amdhsa_kernel _ZN9rocsparseL29bsrmmnt_small_blockdim_kernelILj64ELj16ELj2Ell21rocsparse_complex_numIfES2_S2_S2_EEv20rocsparse_direction_T3_S4_llNS_24const_host_device_scalarIT7_EEPKT2_PKS4_PKT4_PKT5_llS7_PT6_ll16rocsparse_order_21rocsparse_index_base_b
		.amdhsa_group_segment_fixed_size 2048
		.amdhsa_private_segment_fixed_size 0
		.amdhsa_kernarg_size 400
		.amdhsa_user_sgpr_count 15
		.amdhsa_user_sgpr_dispatch_ptr 0
		.amdhsa_user_sgpr_queue_ptr 0
		.amdhsa_user_sgpr_kernarg_segment_ptr 1
		.amdhsa_user_sgpr_dispatch_id 0
		.amdhsa_user_sgpr_private_segment_size 0
		.amdhsa_wavefront_size32 1
		.amdhsa_uses_dynamic_stack 0
		.amdhsa_enable_private_segment 0
		.amdhsa_system_sgpr_workgroup_id_x 1
		.amdhsa_system_sgpr_workgroup_id_y 0
		.amdhsa_system_sgpr_workgroup_id_z 0
		.amdhsa_system_sgpr_workgroup_info 0
		.amdhsa_system_vgpr_workitem_id 0
		.amdhsa_next_free_vgpr 45
		.amdhsa_next_free_sgpr 26
		.amdhsa_reserve_vcc 1
		.amdhsa_float_round_mode_32 0
		.amdhsa_float_round_mode_16_64 0
		.amdhsa_float_denorm_mode_32 3
		.amdhsa_float_denorm_mode_16_64 3
		.amdhsa_dx10_clamp 1
		.amdhsa_ieee_mode 1
		.amdhsa_fp16_overflow 0
		.amdhsa_workgroup_processor_mode 1
		.amdhsa_memory_ordered 1
		.amdhsa_forward_progress 0
		.amdhsa_shared_vgpr_count 0
		.amdhsa_exception_fp_ieee_invalid_op 0
		.amdhsa_exception_fp_denorm_src 0
		.amdhsa_exception_fp_ieee_div_zero 0
		.amdhsa_exception_fp_ieee_overflow 0
		.amdhsa_exception_fp_ieee_underflow 0
		.amdhsa_exception_fp_ieee_inexact 0
		.amdhsa_exception_int_div_zero 0
	.end_amdhsa_kernel
	.section	.text._ZN9rocsparseL29bsrmmnt_small_blockdim_kernelILj64ELj16ELj2Ell21rocsparse_complex_numIfES2_S2_S2_EEv20rocsparse_direction_T3_S4_llNS_24const_host_device_scalarIT7_EEPKT2_PKS4_PKT4_PKT5_llS7_PT6_ll16rocsparse_order_21rocsparse_index_base_b,"axG",@progbits,_ZN9rocsparseL29bsrmmnt_small_blockdim_kernelILj64ELj16ELj2Ell21rocsparse_complex_numIfES2_S2_S2_EEv20rocsparse_direction_T3_S4_llNS_24const_host_device_scalarIT7_EEPKT2_PKS4_PKT4_PKT5_llS7_PT6_ll16rocsparse_order_21rocsparse_index_base_b,comdat
.Lfunc_end54:
	.size	_ZN9rocsparseL29bsrmmnt_small_blockdim_kernelILj64ELj16ELj2Ell21rocsparse_complex_numIfES2_S2_S2_EEv20rocsparse_direction_T3_S4_llNS_24const_host_device_scalarIT7_EEPKT2_PKS4_PKT4_PKT5_llS7_PT6_ll16rocsparse_order_21rocsparse_index_base_b, .Lfunc_end54-_ZN9rocsparseL29bsrmmnt_small_blockdim_kernelILj64ELj16ELj2Ell21rocsparse_complex_numIfES2_S2_S2_EEv20rocsparse_direction_T3_S4_llNS_24const_host_device_scalarIT7_EEPKT2_PKS4_PKT4_PKT5_llS7_PT6_ll16rocsparse_order_21rocsparse_index_base_b
                                        ; -- End function
	.section	.AMDGPU.csdata,"",@progbits
; Kernel info:
; codeLenInByte = 2012
; NumSgprs: 28
; NumVgprs: 45
; ScratchSize: 0
; MemoryBound: 0
; FloatMode: 240
; IeeeMode: 1
; LDSByteSize: 2048 bytes/workgroup (compile time only)
; SGPRBlocks: 3
; VGPRBlocks: 5
; NumSGPRsForWavesPerEU: 28
; NumVGPRsForWavesPerEU: 45
; Occupancy: 16
; WaveLimiterHint : 1
; COMPUTE_PGM_RSRC2:SCRATCH_EN: 0
; COMPUTE_PGM_RSRC2:USER_SGPR: 15
; COMPUTE_PGM_RSRC2:TRAP_HANDLER: 0
; COMPUTE_PGM_RSRC2:TGID_X_EN: 1
; COMPUTE_PGM_RSRC2:TGID_Y_EN: 0
; COMPUTE_PGM_RSRC2:TGID_Z_EN: 0
; COMPUTE_PGM_RSRC2:TIDIG_COMP_CNT: 0
	.section	.text._ZN9rocsparseL29bsrmmnt_small_blockdim_kernelILj64ELj32ELj2Ell21rocsparse_complex_numIfES2_S2_S2_EEv20rocsparse_direction_T3_S4_llNS_24const_host_device_scalarIT7_EEPKT2_PKS4_PKT4_PKT5_llS7_PT6_ll16rocsparse_order_21rocsparse_index_base_b,"axG",@progbits,_ZN9rocsparseL29bsrmmnt_small_blockdim_kernelILj64ELj32ELj2Ell21rocsparse_complex_numIfES2_S2_S2_EEv20rocsparse_direction_T3_S4_llNS_24const_host_device_scalarIT7_EEPKT2_PKS4_PKT4_PKT5_llS7_PT6_ll16rocsparse_order_21rocsparse_index_base_b,comdat
	.globl	_ZN9rocsparseL29bsrmmnt_small_blockdim_kernelILj64ELj32ELj2Ell21rocsparse_complex_numIfES2_S2_S2_EEv20rocsparse_direction_T3_S4_llNS_24const_host_device_scalarIT7_EEPKT2_PKS4_PKT4_PKT5_llS7_PT6_ll16rocsparse_order_21rocsparse_index_base_b ; -- Begin function _ZN9rocsparseL29bsrmmnt_small_blockdim_kernelILj64ELj32ELj2Ell21rocsparse_complex_numIfES2_S2_S2_EEv20rocsparse_direction_T3_S4_llNS_24const_host_device_scalarIT7_EEPKT2_PKS4_PKT4_PKT5_llS7_PT6_ll16rocsparse_order_21rocsparse_index_base_b
	.p2align	8
	.type	_ZN9rocsparseL29bsrmmnt_small_blockdim_kernelILj64ELj32ELj2Ell21rocsparse_complex_numIfES2_S2_S2_EEv20rocsparse_direction_T3_S4_llNS_24const_host_device_scalarIT7_EEPKT2_PKS4_PKT4_PKT5_llS7_PT6_ll16rocsparse_order_21rocsparse_index_base_b,@function
_ZN9rocsparseL29bsrmmnt_small_blockdim_kernelILj64ELj32ELj2Ell21rocsparse_complex_numIfES2_S2_S2_EEv20rocsparse_direction_T3_S4_llNS_24const_host_device_scalarIT7_EEPKT2_PKS4_PKT4_PKT5_llS7_PT6_ll16rocsparse_order_21rocsparse_index_base_b: ; @_ZN9rocsparseL29bsrmmnt_small_blockdim_kernelILj64ELj32ELj2Ell21rocsparse_complex_numIfES2_S2_S2_EEv20rocsparse_direction_T3_S4_llNS_24const_host_device_scalarIT7_EEPKT2_PKS4_PKT4_PKT5_llS7_PT6_ll16rocsparse_order_21rocsparse_index_base_b
; %bb.0:
	s_clause 0x2
	s_load_b128 s[20:23], s[0:1], 0x80
	s_load_b64 s[4:5], s[0:1], 0x28
	s_load_b64 s[2:3], s[0:1], 0x60
	s_waitcnt lgkmcnt(0)
	s_bitcmp1_b32 s22, 0
	v_mov_b32_e32 v19, s4
	s_cselect_b32 s6, -1, 0
	s_delay_alu instid0(SALU_CYCLE_1)
	s_and_b32 vcc_lo, exec_lo, s6
	s_xor_b32 s6, s6, -1
	s_cbranch_vccz .LBB55_35
; %bb.1:
	v_cndmask_b32_e64 v1, 0, 1, s6
	v_mov_b32_e32 v20, s5
	s_and_not1_b32 vcc_lo, exec_lo, s6
	s_cbranch_vccz .LBB55_36
.LBB55_2:
	s_delay_alu instid0(VALU_DEP_2)
	v_cmp_ne_u32_e32 vcc_lo, 1, v1
	v_mov_b32_e32 v21, s2
	s_cbranch_vccz .LBB55_37
.LBB55_3:
	v_cmp_ne_u32_e32 vcc_lo, 1, v1
	v_mov_b32_e32 v22, s3
	s_cbranch_vccnz .LBB55_5
.LBB55_4:
	v_dual_mov_b32 v1, s2 :: v_dual_mov_b32 v2, s3
	flat_load_b32 v22, v[1:2] offset:4
.LBB55_5:
	s_waitcnt vmcnt(0) lgkmcnt(0)
	v_cmp_eq_f32_e32 vcc_lo, 0, v19
	v_cmp_eq_f32_e64 s2, 0, v20
	s_delay_alu instid0(VALU_DEP_1)
	s_and_b32 s4, vcc_lo, s2
	s_mov_b32 s2, -1
	s_and_saveexec_b32 s3, s4
; %bb.6:
	v_cmp_neq_f32_e32 vcc_lo, 1.0, v21
	v_cmp_neq_f32_e64 s2, 0, v22
	s_delay_alu instid0(VALU_DEP_1) | instskip(NEXT) | instid1(SALU_CYCLE_1)
	s_or_b32 s2, vcc_lo, s2
	s_or_not1_b32 s2, s2, exec_lo
; %bb.7:
	s_or_b32 exec_lo, exec_lo, s3
	s_and_saveexec_b32 s3, s2
	s_cbranch_execz .LBB55_34
; %bb.8:
	s_clause 0x1
	s_load_b32 s2, s[0:1], 0x9c
	s_load_b128 s[16:19], s[0:1], 0x8
	v_mov_b32_e32 v3, 0
	s_waitcnt lgkmcnt(0)
	s_and_b32 s2, s2, 0xffff
	s_delay_alu instid0(SALU_CYCLE_1) | instskip(NEXT) | instid1(VALU_DEP_1)
	v_mad_u64_u32 v[1:2], null, s15, s2, v[0:1]
	v_lshrrev_b32_e32 v2, 6, v1
	s_delay_alu instid0(VALU_DEP_1)
	v_cmp_gt_i64_e32 vcc_lo, s[16:17], v[2:3]
	s_and_b32 exec_lo, exec_lo, vcc_lo
	s_cbranch_execz .LBB55_34
; %bb.9:
	v_cmp_lt_i64_e64 s2, s[18:19], 1
	s_delay_alu instid0(VALU_DEP_1)
	s_and_b32 vcc_lo, exec_lo, s2
	s_cbranch_vccnz .LBB55_34
; %bb.10:
	s_load_b256 s[4:11], s[0:1], 0x30
	v_lshlrev_b32_e32 v2, 3, v2
	v_lshrrev_b32_e32 v5, 5, v1
	v_bfe_u32 v11, v1, 5, 1
	v_mov_b32_e32 v1, 0
	s_clause 0x2
	s_load_b128 s[12:15], s[0:1], 0x68
	s_load_b64 s[2:3], s[0:1], 0x50
	s_load_b32 s1, s[0:1], 0x0
	v_lshrrev_b32_e32 v6, 5, v0
	v_cmp_neq_f32_e32 vcc_lo, 0, v21
	v_cmp_neq_f32_e64 s0, 0, v22
	v_mov_b32_e32 v12, v1
	s_mov_b32 s16, s21
	v_mul_u32_u24_e32 v24, 0x300, v6
	s_delay_alu instid0(VALU_DEP_3)
	s_or_b32 s17, vcc_lo, s0
	s_cmp_lg_u32 s20, 1
	s_cselect_b32 s20, -1, 0
	s_waitcnt lgkmcnt(0)
	global_load_b128 v[7:10], v2, s[4:5]
	s_mov_b64 s[4:5], 0
	v_mad_u64_u32 v[2:3], null, v5, s14, 0
	v_and_b32_e32 v23, 31, v0
	s_cmp_eq_u32 s1, 0
	s_cselect_b32 s1, -1, 0
	s_delay_alu instid0(SALU_CYCLE_1) | instskip(NEXT) | instid1(VALU_DEP_3)
	v_cndmask_b32_e64 v13, 0, 1, s1
	v_mov_b32_e32 v0, v3
	s_and_b32 s1, s1, exec_lo
	s_delay_alu instid0(VALU_DEP_1) | instskip(SKIP_3) | instid1(VALU_DEP_3)
	v_mad_u64_u32 v[3:4], null, v5, s15, v[0:1]
	v_mul_u32_u24_e32 v4, 3, v23
	v_lshlrev_b32_e32 v5, 3, v5
	v_lshl_or_b32 v0, v6, 8, 0x600
	v_lshlrev_b32_e32 v4, 3, v4
	v_lshlrev_b64 v[2:3], 3, v[2:3]
	s_delay_alu instid0(VALU_DEP_4) | instskip(NEXT) | instid1(VALU_DEP_1)
	v_add_co_u32 v27, s0, s12, v5
	v_add_co_ci_u32_e64 v28, null, s13, 0, s0
	s_delay_alu instid0(VALU_DEP_4) | instskip(NEXT) | instid1(VALU_DEP_4)
	v_mad_u32_u24 v26, 0x300, v6, v4
	v_add_co_u32 v29, vcc_lo, s12, v2
	v_add_co_ci_u32_e32 v30, vcc_lo, s13, v3, vcc_lo
	v_lshl_or_b32 v25, v23, 3, v0
	s_waitcnt vmcnt(0)
	v_sub_co_u32 v3, vcc_lo, v7, s21
	v_subrev_co_ci_u32_e32 v4, vcc_lo, 0, v8, vcc_lo
	v_sub_co_u32 v5, vcc_lo, v9, s21
	v_cmp_lt_i64_e64 s0, v[7:8], v[9:10]
	v_lshlrev_b64 v[7:8], v13, v[11:12]
	v_subrev_co_ci_u32_e32 v6, vcc_lo, 0, v10, vcc_lo
	s_cselect_b32 s21, 1, 2
	s_lshl_b64 s[12:13], s[2:3], 3
	s_branch .LBB55_12
.LBB55_11:                              ;   in Loop: Header=BB55_12 Depth=1
	s_or_b32 exec_lo, exec_lo, s1
	s_add_u32 s4, s4, 32
	s_addc_u32 s5, s5, 0
	s_delay_alu instid0(SALU_CYCLE_1) | instskip(NEXT) | instid1(VALU_DEP_1)
	v_cmp_lt_i64_e64 s1, s[4:5], s[18:19]
	s_and_b32 vcc_lo, exec_lo, s1
	s_cbranch_vccz .LBB55_34
.LBB55_12:                              ; =>This Loop Header: Depth=1
                                        ;     Child Loop BB55_15 Depth 2
                                        ;       Child Loop BB55_21 Depth 3
	v_or_b32_e64 v10, s5, 0
	v_or_b32_e32 v9, s4, v23
	v_mov_b32_e32 v31, v1
	v_mov_b32_e32 v32, v1
	s_and_saveexec_b32 s22, s0
	s_cbranch_execz .LBB55_23
; %bb.13:                               ;   in Loop: Header=BB55_12 Depth=1
	v_lshlrev_b64 v[11:12], 3, v[9:10]
	v_cmp_gt_i64_e32 vcc_lo, s[18:19], v[9:10]
	v_mov_b32_e32 v31, 0
	s_mov_b32 s23, 0
	v_mov_b32_e32 v32, 0
	s_delay_alu instid0(VALU_DEP_4) | instskip(NEXT) | instid1(VALU_DEP_1)
	v_add_co_u32 v33, s1, s10, v11
	v_add_co_ci_u32_e64 v34, s1, s11, v12, s1
	v_dual_mov_b32 v12, v4 :: v_dual_mov_b32 v11, v3
	s_branch .LBB55_15
.LBB55_14:                              ;   in Loop: Header=BB55_15 Depth=2
	s_or_b32 exec_lo, exec_lo, s24
	v_add_co_u32 v11, s1, v11, 32
	s_delay_alu instid0(VALU_DEP_1) | instskip(NEXT) | instid1(VALU_DEP_1)
	v_add_co_ci_u32_e64 v12, s1, 0, v12, s1
	v_cmp_ge_i64_e64 s1, v[11:12], v[5:6]
	s_delay_alu instid0(VALU_DEP_1) | instskip(NEXT) | instid1(SALU_CYCLE_1)
	s_or_b32 s23, s1, s23
	s_and_not1_b32 exec_lo, exec_lo, s23
	s_cbranch_execz .LBB55_22
.LBB55_15:                              ;   Parent Loop BB55_12 Depth=1
                                        ; =>  This Loop Header: Depth=2
                                        ;       Child Loop BB55_21 Depth 3
	s_delay_alu instid0(VALU_DEP_1) | instskip(NEXT) | instid1(VALU_DEP_1)
	v_add_co_u32 v13, s1, v11, v23
	v_add_co_ci_u32_e64 v14, s1, 0, v12, s1
                                        ; implicit-def: $sgpr25
	s_delay_alu instid0(VALU_DEP_1) | instskip(NEXT) | instid1(VALU_DEP_1)
	v_cmp_ge_i64_e64 s1, v[13:14], v[5:6]
	s_and_saveexec_b32 s24, s1
	s_delay_alu instid0(SALU_CYCLE_1)
	s_xor_b32 s1, exec_lo, s24
	s_cbranch_execz .LBB55_17
; %bb.16:                               ;   in Loop: Header=BB55_15 Depth=2
	v_mov_b32_e32 v2, v1
	s_mov_b32 s25, 0
                                        ; implicit-def: $vgpr13_vgpr14
	ds_store_b64 v25, v[1:2]
.LBB55_17:                              ;   in Loop: Header=BB55_15 Depth=2
	s_or_saveexec_b32 s24, s1
	v_dual_mov_b32 v15, s25 :: v_dual_mov_b32 v16, s25
	v_dual_mov_b32 v17, s25 :: v_dual_mov_b32 v18, s25
	s_xor_b32 exec_lo, exec_lo, s24
	s_cbranch_execz .LBB55_19
; %bb.18:                               ;   in Loop: Header=BB55_15 Depth=2
	v_lshlrev_b64 v[15:16], 2, v[13:14]
	v_lshlrev_b64 v[13:14], 3, v[13:14]
	s_delay_alu instid0(VALU_DEP_2) | instskip(NEXT) | instid1(VALU_DEP_3)
	v_or_b32_e32 v16, v16, v8
	v_or_b32_e32 v15, v15, v7
	s_delay_alu instid0(VALU_DEP_3) | instskip(NEXT) | instid1(VALU_DEP_1)
	v_add_co_u32 v13, s1, s6, v13
	v_add_co_ci_u32_e64 v14, s1, s7, v14, s1
	s_delay_alu instid0(VALU_DEP_4) | instskip(NEXT) | instid1(VALU_DEP_4)
	v_or_b32_e32 v18, 0, v16
	v_or_b32_e32 v17, s21, v15
	v_lshlrev_b64 v[15:16], 3, v[15:16]
	global_load_b64 v[13:14], v[13:14], off
	v_lshlrev_b64 v[17:18], 3, v[17:18]
	v_add_co_u32 v15, s1, s8, v15
	s_delay_alu instid0(VALU_DEP_1) | instskip(NEXT) | instid1(VALU_DEP_3)
	v_add_co_ci_u32_e64 v16, s1, s9, v16, s1
	v_add_co_u32 v17, s1, s8, v17
	s_delay_alu instid0(VALU_DEP_1)
	v_add_co_ci_u32_e64 v18, s1, s9, v18, s1
	s_clause 0x1
	global_load_b64 v[15:16], v[15:16], off
	global_load_b64 v[17:18], v[17:18], off
	s_waitcnt vmcnt(2)
	v_sub_co_u32 v13, s1, v13, s16
	s_delay_alu instid0(VALU_DEP_1) | instskip(NEXT) | instid1(VALU_DEP_1)
	v_subrev_co_ci_u32_e64 v14, s1, 0, v14, s1
	v_lshlrev_b64 v[13:14], 1, v[13:14]
	ds_store_b64 v25, v[13:14]
.LBB55_19:                              ;   in Loop: Header=BB55_15 Depth=2
	s_or_b32 exec_lo, exec_lo, s24
	s_waitcnt vmcnt(0)
	ds_store_2addr_b64 v26, v[15:16], v[17:18] offset1:1
	s_waitcnt lgkmcnt(0)
	s_waitcnt_vscnt null, 0x0
	s_barrier
	buffer_gl0_inv
	s_and_saveexec_b32 s24, vcc_lo
	s_cbranch_execz .LBB55_14
; %bb.20:                               ;   in Loop: Header=BB55_15 Depth=2
	v_mov_b32_e32 v2, v24
	s_mov_b32 s25, 0
.LBB55_21:                              ;   Parent Loop BB55_12 Depth=1
                                        ;     Parent Loop BB55_15 Depth=2
                                        ; =>    This Inner Loop Header: Depth=3
	s_delay_alu instid0(SALU_CYCLE_1) | instskip(SKIP_1) | instid1(SALU_CYCLE_1)
	v_add_nc_u32_e32 v13, s25, v0
	s_add_i32 s25, s25, 16
	s_cmpk_lg_i32 s25, 0x100
	ds_load_b128 v[13:16], v13
	s_waitcnt lgkmcnt(0)
	v_mul_lo_u32 v14, v14, s2
	v_mul_lo_u32 v35, v13, s3
	v_mad_u64_u32 v[17:18], null, v13, s2, 0
	v_mul_lo_u32 v36, v16, s2
	v_mul_lo_u32 v37, v15, s3
	s_delay_alu instid0(VALU_DEP_3) | instskip(NEXT) | instid1(VALU_DEP_1)
	v_add3_u32 v18, v18, v35, v14
	v_lshlrev_b64 v[13:14], 3, v[17:18]
	v_mad_u64_u32 v[16:17], null, v15, s2, 0
	s_delay_alu instid0(VALU_DEP_2) | instskip(NEXT) | instid1(VALU_DEP_1)
	v_add_co_u32 v13, s1, v33, v13
	v_add_co_ci_u32_e64 v14, s1, v34, v14, s1
	s_delay_alu instid0(VALU_DEP_3) | instskip(SKIP_2) | instid1(VALU_DEP_1)
	v_add3_u32 v17, v17, v37, v36
	global_load_b64 v[39:40], v[13:14], off
	v_add_co_u32 v13, s1, v13, s12
	v_add_co_ci_u32_e64 v14, s1, s13, v14, s1
	v_lshlrev_b64 v[15:16], 3, v[16:17]
	global_load_b64 v[17:18], v[13:14], off
	v_add_co_u32 v13, s1, v33, v15
	s_delay_alu instid0(VALU_DEP_1) | instskip(SKIP_2) | instid1(VALU_DEP_1)
	v_add_co_ci_u32_e64 v14, s1, v34, v16, s1
	global_load_b64 v[41:42], v[13:14], off
	v_add_co_u32 v13, s1, v13, s12
	v_add_co_ci_u32_e64 v14, s1, s13, v14, s1
	global_load_b64 v[43:44], v[13:14], off
	ds_load_b128 v[13:16], v2
	ds_load_2addr_b64 v[35:38], v2 offset0:3 offset1:4
	s_waitcnt vmcnt(3) lgkmcnt(1)
	v_dual_fmac_f32 v31, v14, v39 :: v_dual_add_nc_u32 v2, 48, v2
	s_delay_alu instid0(VALU_DEP_1) | instskip(SKIP_1) | instid1(VALU_DEP_1)
	v_fmac_f32_e32 v31, v13, v40
	s_waitcnt vmcnt(2)
	v_dual_fmac_f32 v32, v13, v39 :: v_dual_fmac_f32 v31, v16, v17
	s_delay_alu instid0(VALU_DEP_1) | instskip(NEXT) | instid1(VALU_DEP_2)
	v_fma_f32 v14, -v14, v40, v32
	v_fmac_f32_e32 v31, v15, v18
	s_delay_alu instid0(VALU_DEP_2) | instskip(SKIP_1) | instid1(VALU_DEP_2)
	v_fmac_f32_e32 v14, v15, v17
	s_waitcnt vmcnt(1) lgkmcnt(0)
	v_fmac_f32_e32 v31, v36, v41
	s_delay_alu instid0(VALU_DEP_2) | instskip(NEXT) | instid1(VALU_DEP_2)
	v_fma_f32 v13, -v16, v18, v14
	v_fmac_f32_e32 v31, v35, v42
	s_delay_alu instid0(VALU_DEP_2) | instskip(SKIP_1) | instid1(VALU_DEP_2)
	v_fmac_f32_e32 v13, v35, v41
	s_waitcnt vmcnt(0)
	v_fmac_f32_e32 v31, v38, v43
	s_delay_alu instid0(VALU_DEP_2) | instskip(NEXT) | instid1(VALU_DEP_2)
	v_fma_f32 v13, -v36, v42, v13
	v_fmac_f32_e32 v31, v37, v44
	s_delay_alu instid0(VALU_DEP_2) | instskip(NEXT) | instid1(VALU_DEP_1)
	v_fmac_f32_e32 v13, v37, v43
	v_fma_f32 v32, -v38, v44, v13
	s_cbranch_scc1 .LBB55_21
	s_branch .LBB55_14
.LBB55_22:                              ;   in Loop: Header=BB55_12 Depth=1
	s_or_b32 exec_lo, exec_lo, s23
.LBB55_23:                              ;   in Loop: Header=BB55_12 Depth=1
	s_delay_alu instid0(SALU_CYCLE_1) | instskip(NEXT) | instid1(SALU_CYCLE_1)
	s_or_b32 exec_lo, exec_lo, s22
	s_mov_b32 s1, exec_lo
	v_cmpx_gt_i64_e64 s[18:19], v[9:10]
	s_cbranch_execz .LBB55_11
; %bb.24:                               ;   in Loop: Header=BB55_12 Depth=1
	s_and_saveexec_b32 s22, s17
	s_delay_alu instid0(SALU_CYCLE_1)
	s_xor_b32 s22, exec_lo, s22
	s_cbranch_execz .LBB55_29
; %bb.25:                               ;   in Loop: Header=BB55_12 Depth=1
	s_and_b32 vcc_lo, exec_lo, s20
	s_mov_b32 s23, -1
	s_cbranch_vccz .LBB55_27
; %bb.26:                               ;   in Loop: Header=BB55_12 Depth=1
	v_lshlrev_b64 v[11:12], 3, v[9:10]
	v_mul_f32_e64 v2, v31, -v20
	v_mul_f32_e32 v16, v31, v19
	s_mov_b32 s23, 0
	s_delay_alu instid0(VALU_DEP_2) | instskip(NEXT) | instid1(VALU_DEP_4)
	v_fmac_f32_e32 v2, v19, v32
	v_add_co_u32 v11, vcc_lo, v29, v11
	v_add_co_ci_u32_e32 v12, vcc_lo, v30, v12, vcc_lo
	v_fmac_f32_e32 v16, v20, v32
	global_load_b64 v[13:14], v[11:12], off
	s_waitcnt vmcnt(0)
	v_fmac_f32_e32 v2, v21, v13
	v_fmac_f32_e32 v16, v22, v13
	s_delay_alu instid0(VALU_DEP_2) | instskip(NEXT) | instid1(VALU_DEP_2)
	v_fma_f32 v15, -v22, v14, v2
	v_fmac_f32_e32 v16, v21, v14
	global_store_b64 v[11:12], v[15:16], off
.LBB55_27:                              ;   in Loop: Header=BB55_12 Depth=1
	s_and_not1_b32 vcc_lo, exec_lo, s23
	s_cbranch_vccnz .LBB55_29
; %bb.28:                               ;   in Loop: Header=BB55_12 Depth=1
	v_mul_lo_u32 v2, v10, s14
	v_mul_lo_u32 v12, v9, s15
	v_mad_u64_u32 v[10:11], null, v9, s14, 0
	v_mul_f32_e32 v14, v31, v19
	s_delay_alu instid0(VALU_DEP_1) | instskip(NEXT) | instid1(VALU_DEP_3)
	v_fmac_f32_e32 v14, v20, v32
	v_add3_u32 v11, v11, v12, v2
	v_mul_f32_e64 v2, v31, -v20
                                        ; implicit-def: $vgpr31
	s_delay_alu instid0(VALU_DEP_2) | instskip(NEXT) | instid1(VALU_DEP_2)
	v_lshlrev_b64 v[9:10], 3, v[10:11]
	v_fmac_f32_e32 v2, v19, v32
                                        ; implicit-def: $vgpr32
	s_delay_alu instid0(VALU_DEP_2) | instskip(NEXT) | instid1(VALU_DEP_3)
	v_add_co_u32 v9, vcc_lo, v27, v9
	v_add_co_ci_u32_e32 v10, vcc_lo, v28, v10, vcc_lo
	global_load_b64 v[11:12], v[9:10], off
	s_waitcnt vmcnt(0)
	v_fmac_f32_e32 v2, v21, v11
	v_fmac_f32_e32 v14, v22, v11
	s_delay_alu instid0(VALU_DEP_2) | instskip(NEXT) | instid1(VALU_DEP_2)
	v_fma_f32 v13, -v22, v12, v2
	v_fmac_f32_e32 v14, v21, v12
	global_store_b64 v[9:10], v[13:14], off
                                        ; implicit-def: $vgpr9_vgpr10
.LBB55_29:                              ;   in Loop: Header=BB55_12 Depth=1
	s_and_not1_saveexec_b32 s22, s22
	s_cbranch_execz .LBB55_11
; %bb.30:                               ;   in Loop: Header=BB55_12 Depth=1
	v_mul_f32_e64 v11, v31, -v20
	v_mul_f32_e32 v12, v31, v19
	s_and_b32 vcc_lo, exec_lo, s20
	s_mov_b32 s22, -1
	s_delay_alu instid0(VALU_DEP_2) | instskip(NEXT) | instid1(VALU_DEP_2)
	v_fmac_f32_e32 v11, v19, v32
	v_fmac_f32_e32 v12, v20, v32
	s_cbranch_vccz .LBB55_32
; %bb.31:                               ;   in Loop: Header=BB55_12 Depth=1
	v_lshlrev_b64 v[13:14], 3, v[9:10]
	s_mov_b32 s22, 0
	s_delay_alu instid0(VALU_DEP_1) | instskip(NEXT) | instid1(VALU_DEP_2)
	v_add_co_u32 v13, vcc_lo, v29, v13
	v_add_co_ci_u32_e32 v14, vcc_lo, v30, v14, vcc_lo
	global_store_b64 v[13:14], v[11:12], off
.LBB55_32:                              ;   in Loop: Header=BB55_12 Depth=1
	s_and_not1_b32 vcc_lo, exec_lo, s22
	s_cbranch_vccnz .LBB55_11
; %bb.33:                               ;   in Loop: Header=BB55_12 Depth=1
	v_mul_lo_u32 v2, v10, s14
	v_mul_lo_u32 v10, v9, s15
	v_mad_u64_u32 v[13:14], null, v9, s14, 0
	s_delay_alu instid0(VALU_DEP_1) | instskip(NEXT) | instid1(VALU_DEP_1)
	v_add3_u32 v14, v14, v10, v2
	v_lshlrev_b64 v[9:10], 3, v[13:14]
	s_delay_alu instid0(VALU_DEP_1) | instskip(NEXT) | instid1(VALU_DEP_2)
	v_add_co_u32 v9, vcc_lo, v27, v9
	v_add_co_ci_u32_e32 v10, vcc_lo, v28, v10, vcc_lo
	global_store_b64 v[9:10], v[11:12], off
	s_branch .LBB55_11
.LBB55_34:
	s_nop 0
	s_sendmsg sendmsg(MSG_DEALLOC_VGPRS)
	s_endpgm
.LBB55_35:
	v_dual_mov_b32 v1, s4 :: v_dual_mov_b32 v2, s5
	flat_load_b32 v19, v[1:2]
	v_cndmask_b32_e64 v1, 0, 1, s6
	v_mov_b32_e32 v20, s5
	s_and_not1_b32 vcc_lo, exec_lo, s6
	s_cbranch_vccnz .LBB55_2
.LBB55_36:
	v_dual_mov_b32 v2, s4 :: v_dual_mov_b32 v3, s5
	flat_load_b32 v20, v[2:3] offset:4
	v_cmp_ne_u32_e32 vcc_lo, 1, v1
	v_mov_b32_e32 v21, s2
	s_cbranch_vccnz .LBB55_3
.LBB55_37:
	v_dual_mov_b32 v2, s2 :: v_dual_mov_b32 v3, s3
	flat_load_b32 v21, v[2:3]
	v_cmp_ne_u32_e32 vcc_lo, 1, v1
	v_mov_b32_e32 v22, s3
	s_cbranch_vccz .LBB55_4
	s_branch .LBB55_5
	.section	.rodata,"a",@progbits
	.p2align	6, 0x0
	.amdhsa_kernel _ZN9rocsparseL29bsrmmnt_small_blockdim_kernelILj64ELj32ELj2Ell21rocsparse_complex_numIfES2_S2_S2_EEv20rocsparse_direction_T3_S4_llNS_24const_host_device_scalarIT7_EEPKT2_PKS4_PKT4_PKT5_llS7_PT6_ll16rocsparse_order_21rocsparse_index_base_b
		.amdhsa_group_segment_fixed_size 2048
		.amdhsa_private_segment_fixed_size 0
		.amdhsa_kernarg_size 400
		.amdhsa_user_sgpr_count 15
		.amdhsa_user_sgpr_dispatch_ptr 0
		.amdhsa_user_sgpr_queue_ptr 0
		.amdhsa_user_sgpr_kernarg_segment_ptr 1
		.amdhsa_user_sgpr_dispatch_id 0
		.amdhsa_user_sgpr_private_segment_size 0
		.amdhsa_wavefront_size32 1
		.amdhsa_uses_dynamic_stack 0
		.amdhsa_enable_private_segment 0
		.amdhsa_system_sgpr_workgroup_id_x 1
		.amdhsa_system_sgpr_workgroup_id_y 0
		.amdhsa_system_sgpr_workgroup_id_z 0
		.amdhsa_system_sgpr_workgroup_info 0
		.amdhsa_system_vgpr_workitem_id 0
		.amdhsa_next_free_vgpr 45
		.amdhsa_next_free_sgpr 26
		.amdhsa_reserve_vcc 1
		.amdhsa_float_round_mode_32 0
		.amdhsa_float_round_mode_16_64 0
		.amdhsa_float_denorm_mode_32 3
		.amdhsa_float_denorm_mode_16_64 3
		.amdhsa_dx10_clamp 1
		.amdhsa_ieee_mode 1
		.amdhsa_fp16_overflow 0
		.amdhsa_workgroup_processor_mode 1
		.amdhsa_memory_ordered 1
		.amdhsa_forward_progress 0
		.amdhsa_shared_vgpr_count 0
		.amdhsa_exception_fp_ieee_invalid_op 0
		.amdhsa_exception_fp_denorm_src 0
		.amdhsa_exception_fp_ieee_div_zero 0
		.amdhsa_exception_fp_ieee_overflow 0
		.amdhsa_exception_fp_ieee_underflow 0
		.amdhsa_exception_fp_ieee_inexact 0
		.amdhsa_exception_int_div_zero 0
	.end_amdhsa_kernel
	.section	.text._ZN9rocsparseL29bsrmmnt_small_blockdim_kernelILj64ELj32ELj2Ell21rocsparse_complex_numIfES2_S2_S2_EEv20rocsparse_direction_T3_S4_llNS_24const_host_device_scalarIT7_EEPKT2_PKS4_PKT4_PKT5_llS7_PT6_ll16rocsparse_order_21rocsparse_index_base_b,"axG",@progbits,_ZN9rocsparseL29bsrmmnt_small_blockdim_kernelILj64ELj32ELj2Ell21rocsparse_complex_numIfES2_S2_S2_EEv20rocsparse_direction_T3_S4_llNS_24const_host_device_scalarIT7_EEPKT2_PKS4_PKT4_PKT5_llS7_PT6_ll16rocsparse_order_21rocsparse_index_base_b,comdat
.Lfunc_end55:
	.size	_ZN9rocsparseL29bsrmmnt_small_blockdim_kernelILj64ELj32ELj2Ell21rocsparse_complex_numIfES2_S2_S2_EEv20rocsparse_direction_T3_S4_llNS_24const_host_device_scalarIT7_EEPKT2_PKS4_PKT4_PKT5_llS7_PT6_ll16rocsparse_order_21rocsparse_index_base_b, .Lfunc_end55-_ZN9rocsparseL29bsrmmnt_small_blockdim_kernelILj64ELj32ELj2Ell21rocsparse_complex_numIfES2_S2_S2_EEv20rocsparse_direction_T3_S4_llNS_24const_host_device_scalarIT7_EEPKT2_PKS4_PKT4_PKT5_llS7_PT6_ll16rocsparse_order_21rocsparse_index_base_b
                                        ; -- End function
	.section	.AMDGPU.csdata,"",@progbits
; Kernel info:
; codeLenInByte = 2012
; NumSgprs: 28
; NumVgprs: 45
; ScratchSize: 0
; MemoryBound: 0
; FloatMode: 240
; IeeeMode: 1
; LDSByteSize: 2048 bytes/workgroup (compile time only)
; SGPRBlocks: 3
; VGPRBlocks: 5
; NumSGPRsForWavesPerEU: 28
; NumVGPRsForWavesPerEU: 45
; Occupancy: 16
; WaveLimiterHint : 1
; COMPUTE_PGM_RSRC2:SCRATCH_EN: 0
; COMPUTE_PGM_RSRC2:USER_SGPR: 15
; COMPUTE_PGM_RSRC2:TRAP_HANDLER: 0
; COMPUTE_PGM_RSRC2:TGID_X_EN: 1
; COMPUTE_PGM_RSRC2:TGID_Y_EN: 0
; COMPUTE_PGM_RSRC2:TGID_Z_EN: 0
; COMPUTE_PGM_RSRC2:TIDIG_COMP_CNT: 0
	.section	.text._ZN9rocsparseL29bsrmmnt_small_blockdim_kernelILj64ELj64ELj2Ell21rocsparse_complex_numIfES2_S2_S2_EEv20rocsparse_direction_T3_S4_llNS_24const_host_device_scalarIT7_EEPKT2_PKS4_PKT4_PKT5_llS7_PT6_ll16rocsparse_order_21rocsparse_index_base_b,"axG",@progbits,_ZN9rocsparseL29bsrmmnt_small_blockdim_kernelILj64ELj64ELj2Ell21rocsparse_complex_numIfES2_S2_S2_EEv20rocsparse_direction_T3_S4_llNS_24const_host_device_scalarIT7_EEPKT2_PKS4_PKT4_PKT5_llS7_PT6_ll16rocsparse_order_21rocsparse_index_base_b,comdat
	.globl	_ZN9rocsparseL29bsrmmnt_small_blockdim_kernelILj64ELj64ELj2Ell21rocsparse_complex_numIfES2_S2_S2_EEv20rocsparse_direction_T3_S4_llNS_24const_host_device_scalarIT7_EEPKT2_PKS4_PKT4_PKT5_llS7_PT6_ll16rocsparse_order_21rocsparse_index_base_b ; -- Begin function _ZN9rocsparseL29bsrmmnt_small_blockdim_kernelILj64ELj64ELj2Ell21rocsparse_complex_numIfES2_S2_S2_EEv20rocsparse_direction_T3_S4_llNS_24const_host_device_scalarIT7_EEPKT2_PKS4_PKT4_PKT5_llS7_PT6_ll16rocsparse_order_21rocsparse_index_base_b
	.p2align	8
	.type	_ZN9rocsparseL29bsrmmnt_small_blockdim_kernelILj64ELj64ELj2Ell21rocsparse_complex_numIfES2_S2_S2_EEv20rocsparse_direction_T3_S4_llNS_24const_host_device_scalarIT7_EEPKT2_PKS4_PKT4_PKT5_llS7_PT6_ll16rocsparse_order_21rocsparse_index_base_b,@function
_ZN9rocsparseL29bsrmmnt_small_blockdim_kernelILj64ELj64ELj2Ell21rocsparse_complex_numIfES2_S2_S2_EEv20rocsparse_direction_T3_S4_llNS_24const_host_device_scalarIT7_EEPKT2_PKS4_PKT4_PKT5_llS7_PT6_ll16rocsparse_order_21rocsparse_index_base_b: ; @_ZN9rocsparseL29bsrmmnt_small_blockdim_kernelILj64ELj64ELj2Ell21rocsparse_complex_numIfES2_S2_S2_EEv20rocsparse_direction_T3_S4_llNS_24const_host_device_scalarIT7_EEPKT2_PKS4_PKT4_PKT5_llS7_PT6_ll16rocsparse_order_21rocsparse_index_base_b
; %bb.0:
	s_clause 0x2
	s_load_b128 s[20:23], s[0:1], 0x80
	s_load_b64 s[4:5], s[0:1], 0x28
	s_load_b64 s[2:3], s[0:1], 0x60
	s_waitcnt lgkmcnt(0)
	s_bitcmp1_b32 s22, 0
	v_mov_b32_e32 v19, s4
	s_cselect_b32 s6, -1, 0
	s_delay_alu instid0(SALU_CYCLE_1)
	s_and_b32 vcc_lo, exec_lo, s6
	s_xor_b32 s6, s6, -1
	s_cbranch_vccz .LBB56_35
; %bb.1:
	v_cndmask_b32_e64 v1, 0, 1, s6
	v_mov_b32_e32 v20, s5
	s_and_not1_b32 vcc_lo, exec_lo, s6
	s_cbranch_vccz .LBB56_36
.LBB56_2:
	s_delay_alu instid0(VALU_DEP_2)
	v_cmp_ne_u32_e32 vcc_lo, 1, v1
	v_mov_b32_e32 v21, s2
	s_cbranch_vccz .LBB56_37
.LBB56_3:
	v_cmp_ne_u32_e32 vcc_lo, 1, v1
	v_mov_b32_e32 v22, s3
	s_cbranch_vccnz .LBB56_5
.LBB56_4:
	v_dual_mov_b32 v1, s2 :: v_dual_mov_b32 v2, s3
	flat_load_b32 v22, v[1:2] offset:4
.LBB56_5:
	s_waitcnt vmcnt(0) lgkmcnt(0)
	v_cmp_eq_f32_e32 vcc_lo, 0, v19
	v_cmp_eq_f32_e64 s2, 0, v20
	s_delay_alu instid0(VALU_DEP_1)
	s_and_b32 s4, vcc_lo, s2
	s_mov_b32 s2, -1
	s_and_saveexec_b32 s3, s4
; %bb.6:
	v_cmp_neq_f32_e32 vcc_lo, 1.0, v21
	v_cmp_neq_f32_e64 s2, 0, v22
	s_delay_alu instid0(VALU_DEP_1) | instskip(NEXT) | instid1(SALU_CYCLE_1)
	s_or_b32 s2, vcc_lo, s2
	s_or_not1_b32 s2, s2, exec_lo
; %bb.7:
	s_or_b32 exec_lo, exec_lo, s3
	s_and_saveexec_b32 s3, s2
	s_cbranch_execz .LBB56_34
; %bb.8:
	s_clause 0x1
	s_load_b32 s2, s[0:1], 0x9c
	s_load_b128 s[16:19], s[0:1], 0x8
	v_mov_b32_e32 v4, 0
	s_waitcnt lgkmcnt(0)
	s_and_b32 s2, s2, 0xffff
	s_delay_alu instid0(SALU_CYCLE_1) | instskip(NEXT) | instid1(VALU_DEP_1)
	v_mad_u64_u32 v[2:3], null, s15, s2, v[0:1]
	v_lshrrev_b32_e32 v3, 7, v2
	s_delay_alu instid0(VALU_DEP_1)
	v_cmp_gt_i64_e32 vcc_lo, s[16:17], v[3:4]
	s_and_b32 exec_lo, exec_lo, vcc_lo
	s_cbranch_execz .LBB56_34
; %bb.9:
	v_cmp_lt_i64_e64 s2, s[18:19], 1
	s_delay_alu instid0(VALU_DEP_1)
	s_and_b32 vcc_lo, exec_lo, s2
	s_cbranch_vccnz .LBB56_34
; %bb.10:
	s_clause 0x1
	s_load_b128 s[12:15], s[0:1], 0x68
	s_load_b64 s[2:3], s[0:1], 0x50
	v_lshrrev_b32_e32 v13, 6, v2
	s_load_b256 s[4:11], s[0:1], 0x30
	v_lshlrev_b32_e32 v1, 3, v3
	s_load_b32 s1, s[0:1], 0x0
	v_cmp_neq_f32_e32 vcc_lo, 0, v21
	v_cmp_neq_f32_e64 s0, 0, v22
	v_bfe_u32 v11, v2, 6, 1
	v_lshl_or_b32 v23, v0, 3, 0x600
	s_mov_b32 s16, s21
	s_delay_alu instid0(VALU_DEP_3)
	s_or_b32 s17, vcc_lo, s0
	s_cmp_lg_u32 s20, 1
	s_cselect_b32 s20, -1, 0
	s_waitcnt lgkmcnt(0)
	v_mad_u64_u32 v[3:4], null, v13, s14, 0
	s_cmp_eq_u32 s1, 0
	s_cselect_b32 s1, -1, 0
	s_delay_alu instid0(VALU_DEP_1) | instskip(SKIP_1) | instid1(VALU_DEP_1)
	v_mad_u64_u32 v[5:6], null, v13, s15, v[4:5]
	v_mul_u32_u24_e32 v4, 3, v0
	v_lshlrev_b32_e32 v24, 3, v4
	s_delay_alu instid0(VALU_DEP_3)
	v_mov_b32_e32 v4, v5
	global_load_b128 v[7:10], v1, s[4:5]
	v_mov_b32_e32 v1, 0
	s_mov_b64 s[4:5], 0
	v_lshlrev_b32_e32 v5, 3, v13
	v_lshlrev_b64 v[2:3], 3, v[3:4]
	v_cndmask_b32_e64 v13, 0, 1, s1
	v_mov_b32_e32 v12, v1
	s_and_b32 s1, s1, exec_lo
	v_add_co_u32 v25, s0, s12, v5
	s_delay_alu instid0(VALU_DEP_4)
	v_add_co_u32 v27, vcc_lo, s12, v2
	v_add_co_ci_u32_e32 v28, vcc_lo, s13, v3, vcc_lo
	v_add_co_ci_u32_e64 v26, null, s13, 0, s0
	s_waitcnt vmcnt(0)
	v_sub_co_u32 v3, vcc_lo, v7, s21
	v_subrev_co_ci_u32_e32 v4, vcc_lo, 0, v8, vcc_lo
	v_sub_co_u32 v5, vcc_lo, v9, s21
	v_cmp_lt_i64_e64 s0, v[7:8], v[9:10]
	v_lshlrev_b64 v[7:8], v13, v[11:12]
	v_subrev_co_ci_u32_e32 v6, vcc_lo, 0, v10, vcc_lo
	s_cselect_b32 s21, 1, 2
	s_lshl_b64 s[12:13], s[2:3], 3
	s_branch .LBB56_12
.LBB56_11:                              ;   in Loop: Header=BB56_12 Depth=1
	s_or_b32 exec_lo, exec_lo, s1
	s_add_u32 s4, s4, 64
	s_addc_u32 s5, s5, 0
	s_delay_alu instid0(SALU_CYCLE_1) | instskip(NEXT) | instid1(VALU_DEP_1)
	v_cmp_lt_i64_e64 s1, s[4:5], s[18:19]
	s_and_b32 vcc_lo, exec_lo, s1
	s_cbranch_vccz .LBB56_34
.LBB56_12:                              ; =>This Loop Header: Depth=1
                                        ;     Child Loop BB56_15 Depth 2
                                        ;       Child Loop BB56_21 Depth 3
	v_or_b32_e64 v10, s5, 0
	v_or_b32_e32 v9, s4, v0
	v_dual_mov_b32 v29, 0 :: v_dual_mov_b32 v30, 0
	s_and_saveexec_b32 s22, s0
	s_cbranch_execz .LBB56_23
; %bb.13:                               ;   in Loop: Header=BB56_12 Depth=1
	s_delay_alu instid0(VALU_DEP_2) | instskip(SKIP_4) | instid1(VALU_DEP_4)
	v_lshlrev_b64 v[11:12], 3, v[9:10]
	v_cmp_gt_i64_e32 vcc_lo, s[18:19], v[9:10]
	v_mov_b32_e32 v29, 0
	s_mov_b32 s23, 0
	v_mov_b32_e32 v30, 0
	v_add_co_u32 v31, s1, s10, v11
	s_delay_alu instid0(VALU_DEP_1)
	v_add_co_ci_u32_e64 v32, s1, s11, v12, s1
	v_dual_mov_b32 v12, v4 :: v_dual_mov_b32 v11, v3
	s_branch .LBB56_15
.LBB56_14:                              ;   in Loop: Header=BB56_15 Depth=2
	s_or_b32 exec_lo, exec_lo, s24
	v_add_co_u32 v11, s1, v11, 64
	s_delay_alu instid0(VALU_DEP_1) | instskip(NEXT) | instid1(VALU_DEP_1)
	v_add_co_ci_u32_e64 v12, s1, 0, v12, s1
	v_cmp_ge_i64_e64 s1, v[11:12], v[5:6]
	s_delay_alu instid0(VALU_DEP_1) | instskip(NEXT) | instid1(SALU_CYCLE_1)
	s_or_b32 s23, s1, s23
	s_and_not1_b32 exec_lo, exec_lo, s23
	s_cbranch_execz .LBB56_22
.LBB56_15:                              ;   Parent Loop BB56_12 Depth=1
                                        ; =>  This Loop Header: Depth=2
                                        ;       Child Loop BB56_21 Depth 3
	s_delay_alu instid0(VALU_DEP_1) | instskip(NEXT) | instid1(VALU_DEP_1)
	v_add_co_u32 v13, s1, v11, v0
	v_add_co_ci_u32_e64 v14, s1, 0, v12, s1
                                        ; implicit-def: $sgpr25
	s_delay_alu instid0(VALU_DEP_1) | instskip(NEXT) | instid1(VALU_DEP_1)
	v_cmp_ge_i64_e64 s1, v[13:14], v[5:6]
	s_and_saveexec_b32 s24, s1
	s_delay_alu instid0(SALU_CYCLE_1)
	s_xor_b32 s1, exec_lo, s24
	s_cbranch_execz .LBB56_17
; %bb.16:                               ;   in Loop: Header=BB56_15 Depth=2
	v_mov_b32_e32 v2, v1
	s_mov_b32 s25, 0
                                        ; implicit-def: $vgpr13_vgpr14
	ds_store_b64 v23, v[1:2]
.LBB56_17:                              ;   in Loop: Header=BB56_15 Depth=2
	s_or_saveexec_b32 s24, s1
	v_dual_mov_b32 v15, s25 :: v_dual_mov_b32 v16, s25
	v_dual_mov_b32 v17, s25 :: v_dual_mov_b32 v18, s25
	s_xor_b32 exec_lo, exec_lo, s24
	s_cbranch_execz .LBB56_19
; %bb.18:                               ;   in Loop: Header=BB56_15 Depth=2
	v_lshlrev_b64 v[15:16], 2, v[13:14]
	v_lshlrev_b64 v[13:14], 3, v[13:14]
	s_delay_alu instid0(VALU_DEP_2) | instskip(NEXT) | instid1(VALU_DEP_3)
	v_or_b32_e32 v16, v16, v8
	v_or_b32_e32 v15, v15, v7
	s_delay_alu instid0(VALU_DEP_3) | instskip(NEXT) | instid1(VALU_DEP_1)
	v_add_co_u32 v13, s1, s6, v13
	v_add_co_ci_u32_e64 v14, s1, s7, v14, s1
	s_delay_alu instid0(VALU_DEP_4) | instskip(NEXT) | instid1(VALU_DEP_4)
	v_or_b32_e32 v18, 0, v16
	v_or_b32_e32 v17, s21, v15
	v_lshlrev_b64 v[15:16], 3, v[15:16]
	global_load_b64 v[13:14], v[13:14], off
	v_lshlrev_b64 v[17:18], 3, v[17:18]
	v_add_co_u32 v15, s1, s8, v15
	s_delay_alu instid0(VALU_DEP_1) | instskip(NEXT) | instid1(VALU_DEP_3)
	v_add_co_ci_u32_e64 v16, s1, s9, v16, s1
	v_add_co_u32 v17, s1, s8, v17
	s_delay_alu instid0(VALU_DEP_1)
	v_add_co_ci_u32_e64 v18, s1, s9, v18, s1
	s_clause 0x1
	global_load_b64 v[15:16], v[15:16], off
	global_load_b64 v[17:18], v[17:18], off
	s_waitcnt vmcnt(2)
	v_sub_co_u32 v13, s1, v13, s16
	s_delay_alu instid0(VALU_DEP_1) | instskip(NEXT) | instid1(VALU_DEP_1)
	v_subrev_co_ci_u32_e64 v14, s1, 0, v14, s1
	v_lshlrev_b64 v[13:14], 1, v[13:14]
	ds_store_b64 v23, v[13:14]
.LBB56_19:                              ;   in Loop: Header=BB56_15 Depth=2
	s_or_b32 exec_lo, exec_lo, s24
	s_waitcnt vmcnt(0)
	ds_store_2addr_b64 v24, v[15:16], v[17:18] offset1:1
	s_waitcnt lgkmcnt(0)
	s_waitcnt_vscnt null, 0x0
	s_barrier
	buffer_gl0_inv
	s_and_saveexec_b32 s24, vcc_lo
	s_cbranch_execz .LBB56_14
; %bb.20:                               ;   in Loop: Header=BB56_15 Depth=2
	v_mov_b32_e32 v2, 0
	s_mov_b32 s25, 0
.LBB56_21:                              ;   Parent Loop BB56_12 Depth=1
                                        ;     Parent Loop BB56_15 Depth=2
                                        ; =>    This Inner Loop Header: Depth=3
	s_delay_alu instid0(SALU_CYCLE_1) | instskip(SKIP_1) | instid1(SALU_CYCLE_1)
	v_add_nc_u32_e64 v13, 0x600, s25
	s_add_i32 s25, s25, 16
	s_cmpk_lg_i32 s25, 0x200
	ds_load_b128 v[13:16], v13
	s_waitcnt lgkmcnt(0)
	v_mul_lo_u32 v14, v14, s2
	v_mul_lo_u32 v33, v13, s3
	v_mad_u64_u32 v[17:18], null, v13, s2, 0
	v_mul_lo_u32 v34, v16, s2
	v_mul_lo_u32 v35, v15, s3
	s_delay_alu instid0(VALU_DEP_3) | instskip(NEXT) | instid1(VALU_DEP_1)
	v_add3_u32 v18, v18, v33, v14
	v_lshlrev_b64 v[13:14], 3, v[17:18]
	v_mad_u64_u32 v[16:17], null, v15, s2, 0
	s_delay_alu instid0(VALU_DEP_2) | instskip(NEXT) | instid1(VALU_DEP_1)
	v_add_co_u32 v13, s1, v31, v13
	v_add_co_ci_u32_e64 v14, s1, v32, v14, s1
	s_delay_alu instid0(VALU_DEP_3) | instskip(SKIP_2) | instid1(VALU_DEP_1)
	v_add3_u32 v17, v17, v35, v34
	global_load_b64 v[37:38], v[13:14], off
	v_add_co_u32 v13, s1, v13, s12
	v_add_co_ci_u32_e64 v14, s1, s13, v14, s1
	v_lshlrev_b64 v[15:16], 3, v[16:17]
	global_load_b64 v[17:18], v[13:14], off
	v_add_co_u32 v13, s1, v31, v15
	s_delay_alu instid0(VALU_DEP_1) | instskip(SKIP_2) | instid1(VALU_DEP_1)
	v_add_co_ci_u32_e64 v14, s1, v32, v16, s1
	global_load_b64 v[39:40], v[13:14], off
	v_add_co_u32 v13, s1, v13, s12
	v_add_co_ci_u32_e64 v14, s1, s13, v14, s1
	global_load_b64 v[41:42], v[13:14], off
	ds_load_b128 v[13:16], v2
	ds_load_2addr_b64 v[33:36], v2 offset0:3 offset1:4
	s_waitcnt vmcnt(3) lgkmcnt(1)
	v_dual_fmac_f32 v29, v14, v37 :: v_dual_add_nc_u32 v2, 48, v2
	s_delay_alu instid0(VALU_DEP_1) | instskip(SKIP_1) | instid1(VALU_DEP_1)
	v_fmac_f32_e32 v29, v13, v38
	s_waitcnt vmcnt(2)
	v_fmac_f32_e32 v29, v16, v17
	s_delay_alu instid0(VALU_DEP_1) | instskip(NEXT) | instid1(VALU_DEP_1)
	v_dual_fmac_f32 v30, v13, v37 :: v_dual_fmac_f32 v29, v15, v18
	v_fma_f32 v14, -v14, v38, v30
	s_waitcnt vmcnt(1) lgkmcnt(0)
	s_delay_alu instid0(VALU_DEP_1) | instskip(NEXT) | instid1(VALU_DEP_1)
	v_dual_fmac_f32 v29, v34, v39 :: v_dual_fmac_f32 v14, v15, v17
	v_fmac_f32_e32 v29, v33, v40
	s_delay_alu instid0(VALU_DEP_2) | instskip(SKIP_1) | instid1(VALU_DEP_2)
	v_fma_f32 v13, -v16, v18, v14
	s_waitcnt vmcnt(0)
	v_fmac_f32_e32 v29, v36, v41
	s_delay_alu instid0(VALU_DEP_2) | instskip(NEXT) | instid1(VALU_DEP_2)
	v_fmac_f32_e32 v13, v33, v39
	v_fmac_f32_e32 v29, v35, v42
	s_delay_alu instid0(VALU_DEP_2) | instskip(NEXT) | instid1(VALU_DEP_1)
	v_fma_f32 v13, -v34, v40, v13
	v_fmac_f32_e32 v13, v35, v41
	s_delay_alu instid0(VALU_DEP_1)
	v_fma_f32 v30, -v36, v42, v13
	s_cbranch_scc1 .LBB56_21
	s_branch .LBB56_14
.LBB56_22:                              ;   in Loop: Header=BB56_12 Depth=1
	s_or_b32 exec_lo, exec_lo, s23
.LBB56_23:                              ;   in Loop: Header=BB56_12 Depth=1
	s_delay_alu instid0(SALU_CYCLE_1) | instskip(NEXT) | instid1(SALU_CYCLE_1)
	s_or_b32 exec_lo, exec_lo, s22
	s_mov_b32 s1, exec_lo
	v_cmpx_gt_i64_e64 s[18:19], v[9:10]
	s_cbranch_execz .LBB56_11
; %bb.24:                               ;   in Loop: Header=BB56_12 Depth=1
	s_and_saveexec_b32 s22, s17
	s_delay_alu instid0(SALU_CYCLE_1)
	s_xor_b32 s22, exec_lo, s22
	s_cbranch_execz .LBB56_29
; %bb.25:                               ;   in Loop: Header=BB56_12 Depth=1
	s_and_b32 vcc_lo, exec_lo, s20
	s_mov_b32 s23, -1
	s_cbranch_vccz .LBB56_27
; %bb.26:                               ;   in Loop: Header=BB56_12 Depth=1
	v_lshlrev_b64 v[11:12], 3, v[9:10]
	v_mul_f32_e64 v2, v29, -v20
	v_mul_f32_e32 v16, v29, v19
	s_mov_b32 s23, 0
	s_delay_alu instid0(VALU_DEP_2) | instskip(NEXT) | instid1(VALU_DEP_4)
	v_fmac_f32_e32 v2, v19, v30
	v_add_co_u32 v11, vcc_lo, v27, v11
	v_add_co_ci_u32_e32 v12, vcc_lo, v28, v12, vcc_lo
	v_fmac_f32_e32 v16, v20, v30
	global_load_b64 v[13:14], v[11:12], off
	s_waitcnt vmcnt(0)
	v_fmac_f32_e32 v2, v21, v13
	v_fmac_f32_e32 v16, v22, v13
	s_delay_alu instid0(VALU_DEP_2) | instskip(NEXT) | instid1(VALU_DEP_2)
	v_fma_f32 v15, -v22, v14, v2
	v_fmac_f32_e32 v16, v21, v14
	global_store_b64 v[11:12], v[15:16], off
.LBB56_27:                              ;   in Loop: Header=BB56_12 Depth=1
	s_and_not1_b32 vcc_lo, exec_lo, s23
	s_cbranch_vccnz .LBB56_29
; %bb.28:                               ;   in Loop: Header=BB56_12 Depth=1
	v_mul_lo_u32 v2, v10, s14
	v_mul_lo_u32 v12, v9, s15
	v_mad_u64_u32 v[10:11], null, v9, s14, 0
	v_mul_f32_e32 v14, v29, v19
	s_delay_alu instid0(VALU_DEP_1) | instskip(NEXT) | instid1(VALU_DEP_3)
	v_fmac_f32_e32 v14, v20, v30
	v_add3_u32 v11, v11, v12, v2
	v_mul_f32_e64 v2, v29, -v20
                                        ; implicit-def: $vgpr29
	s_delay_alu instid0(VALU_DEP_2) | instskip(NEXT) | instid1(VALU_DEP_2)
	v_lshlrev_b64 v[9:10], 3, v[10:11]
	v_fmac_f32_e32 v2, v19, v30
                                        ; implicit-def: $vgpr30
	s_delay_alu instid0(VALU_DEP_2) | instskip(NEXT) | instid1(VALU_DEP_3)
	v_add_co_u32 v9, vcc_lo, v25, v9
	v_add_co_ci_u32_e32 v10, vcc_lo, v26, v10, vcc_lo
	global_load_b64 v[11:12], v[9:10], off
	s_waitcnt vmcnt(0)
	v_fmac_f32_e32 v2, v21, v11
	v_fmac_f32_e32 v14, v22, v11
	s_delay_alu instid0(VALU_DEP_2) | instskip(NEXT) | instid1(VALU_DEP_2)
	v_fma_f32 v13, -v22, v12, v2
	v_fmac_f32_e32 v14, v21, v12
	global_store_b64 v[9:10], v[13:14], off
                                        ; implicit-def: $vgpr9_vgpr10
.LBB56_29:                              ;   in Loop: Header=BB56_12 Depth=1
	s_and_not1_saveexec_b32 s22, s22
	s_cbranch_execz .LBB56_11
; %bb.30:                               ;   in Loop: Header=BB56_12 Depth=1
	v_mul_f32_e64 v11, v29, -v20
	v_mul_f32_e32 v12, v29, v19
	s_and_b32 vcc_lo, exec_lo, s20
	s_mov_b32 s22, -1
	s_delay_alu instid0(VALU_DEP_2) | instskip(NEXT) | instid1(VALU_DEP_2)
	v_fmac_f32_e32 v11, v19, v30
	v_fmac_f32_e32 v12, v20, v30
	s_cbranch_vccz .LBB56_32
; %bb.31:                               ;   in Loop: Header=BB56_12 Depth=1
	v_lshlrev_b64 v[13:14], 3, v[9:10]
	s_mov_b32 s22, 0
	s_delay_alu instid0(VALU_DEP_1) | instskip(NEXT) | instid1(VALU_DEP_2)
	v_add_co_u32 v13, vcc_lo, v27, v13
	v_add_co_ci_u32_e32 v14, vcc_lo, v28, v14, vcc_lo
	global_store_b64 v[13:14], v[11:12], off
.LBB56_32:                              ;   in Loop: Header=BB56_12 Depth=1
	s_and_not1_b32 vcc_lo, exec_lo, s22
	s_cbranch_vccnz .LBB56_11
; %bb.33:                               ;   in Loop: Header=BB56_12 Depth=1
	v_mul_lo_u32 v2, v10, s14
	v_mul_lo_u32 v10, v9, s15
	v_mad_u64_u32 v[13:14], null, v9, s14, 0
	s_delay_alu instid0(VALU_DEP_1) | instskip(NEXT) | instid1(VALU_DEP_1)
	v_add3_u32 v14, v14, v10, v2
	v_lshlrev_b64 v[9:10], 3, v[13:14]
	s_delay_alu instid0(VALU_DEP_1) | instskip(NEXT) | instid1(VALU_DEP_2)
	v_add_co_u32 v9, vcc_lo, v25, v9
	v_add_co_ci_u32_e32 v10, vcc_lo, v26, v10, vcc_lo
	global_store_b64 v[9:10], v[11:12], off
	s_branch .LBB56_11
.LBB56_34:
	s_nop 0
	s_sendmsg sendmsg(MSG_DEALLOC_VGPRS)
	s_endpgm
.LBB56_35:
	v_dual_mov_b32 v1, s4 :: v_dual_mov_b32 v2, s5
	flat_load_b32 v19, v[1:2]
	v_cndmask_b32_e64 v1, 0, 1, s6
	v_mov_b32_e32 v20, s5
	s_and_not1_b32 vcc_lo, exec_lo, s6
	s_cbranch_vccnz .LBB56_2
.LBB56_36:
	v_dual_mov_b32 v2, s4 :: v_dual_mov_b32 v3, s5
	flat_load_b32 v20, v[2:3] offset:4
	v_cmp_ne_u32_e32 vcc_lo, 1, v1
	v_mov_b32_e32 v21, s2
	s_cbranch_vccnz .LBB56_3
.LBB56_37:
	v_dual_mov_b32 v2, s2 :: v_dual_mov_b32 v3, s3
	flat_load_b32 v21, v[2:3]
	v_cmp_ne_u32_e32 vcc_lo, 1, v1
	v_mov_b32_e32 v22, s3
	s_cbranch_vccz .LBB56_4
	s_branch .LBB56_5
	.section	.rodata,"a",@progbits
	.p2align	6, 0x0
	.amdhsa_kernel _ZN9rocsparseL29bsrmmnt_small_blockdim_kernelILj64ELj64ELj2Ell21rocsparse_complex_numIfES2_S2_S2_EEv20rocsparse_direction_T3_S4_llNS_24const_host_device_scalarIT7_EEPKT2_PKS4_PKT4_PKT5_llS7_PT6_ll16rocsparse_order_21rocsparse_index_base_b
		.amdhsa_group_segment_fixed_size 2048
		.amdhsa_private_segment_fixed_size 0
		.amdhsa_kernarg_size 400
		.amdhsa_user_sgpr_count 15
		.amdhsa_user_sgpr_dispatch_ptr 0
		.amdhsa_user_sgpr_queue_ptr 0
		.amdhsa_user_sgpr_kernarg_segment_ptr 1
		.amdhsa_user_sgpr_dispatch_id 0
		.amdhsa_user_sgpr_private_segment_size 0
		.amdhsa_wavefront_size32 1
		.amdhsa_uses_dynamic_stack 0
		.amdhsa_enable_private_segment 0
		.amdhsa_system_sgpr_workgroup_id_x 1
		.amdhsa_system_sgpr_workgroup_id_y 0
		.amdhsa_system_sgpr_workgroup_id_z 0
		.amdhsa_system_sgpr_workgroup_info 0
		.amdhsa_system_vgpr_workitem_id 0
		.amdhsa_next_free_vgpr 43
		.amdhsa_next_free_sgpr 26
		.amdhsa_reserve_vcc 1
		.amdhsa_float_round_mode_32 0
		.amdhsa_float_round_mode_16_64 0
		.amdhsa_float_denorm_mode_32 3
		.amdhsa_float_denorm_mode_16_64 3
		.amdhsa_dx10_clamp 1
		.amdhsa_ieee_mode 1
		.amdhsa_fp16_overflow 0
		.amdhsa_workgroup_processor_mode 1
		.amdhsa_memory_ordered 1
		.amdhsa_forward_progress 0
		.amdhsa_shared_vgpr_count 0
		.amdhsa_exception_fp_ieee_invalid_op 0
		.amdhsa_exception_fp_denorm_src 0
		.amdhsa_exception_fp_ieee_div_zero 0
		.amdhsa_exception_fp_ieee_overflow 0
		.amdhsa_exception_fp_ieee_underflow 0
		.amdhsa_exception_fp_ieee_inexact 0
		.amdhsa_exception_int_div_zero 0
	.end_amdhsa_kernel
	.section	.text._ZN9rocsparseL29bsrmmnt_small_blockdim_kernelILj64ELj64ELj2Ell21rocsparse_complex_numIfES2_S2_S2_EEv20rocsparse_direction_T3_S4_llNS_24const_host_device_scalarIT7_EEPKT2_PKS4_PKT4_PKT5_llS7_PT6_ll16rocsparse_order_21rocsparse_index_base_b,"axG",@progbits,_ZN9rocsparseL29bsrmmnt_small_blockdim_kernelILj64ELj64ELj2Ell21rocsparse_complex_numIfES2_S2_S2_EEv20rocsparse_direction_T3_S4_llNS_24const_host_device_scalarIT7_EEPKT2_PKS4_PKT4_PKT5_llS7_PT6_ll16rocsparse_order_21rocsparse_index_base_b,comdat
.Lfunc_end56:
	.size	_ZN9rocsparseL29bsrmmnt_small_blockdim_kernelILj64ELj64ELj2Ell21rocsparse_complex_numIfES2_S2_S2_EEv20rocsparse_direction_T3_S4_llNS_24const_host_device_scalarIT7_EEPKT2_PKS4_PKT4_PKT5_llS7_PT6_ll16rocsparse_order_21rocsparse_index_base_b, .Lfunc_end56-_ZN9rocsparseL29bsrmmnt_small_blockdim_kernelILj64ELj64ELj2Ell21rocsparse_complex_numIfES2_S2_S2_EEv20rocsparse_direction_T3_S4_llNS_24const_host_device_scalarIT7_EEPKT2_PKS4_PKT4_PKT5_llS7_PT6_ll16rocsparse_order_21rocsparse_index_base_b
                                        ; -- End function
	.section	.AMDGPU.csdata,"",@progbits
; Kernel info:
; codeLenInByte = 1984
; NumSgprs: 28
; NumVgprs: 43
; ScratchSize: 0
; MemoryBound: 0
; FloatMode: 240
; IeeeMode: 1
; LDSByteSize: 2048 bytes/workgroup (compile time only)
; SGPRBlocks: 3
; VGPRBlocks: 5
; NumSGPRsForWavesPerEU: 28
; NumVGPRsForWavesPerEU: 43
; Occupancy: 16
; WaveLimiterHint : 1
; COMPUTE_PGM_RSRC2:SCRATCH_EN: 0
; COMPUTE_PGM_RSRC2:USER_SGPR: 15
; COMPUTE_PGM_RSRC2:TRAP_HANDLER: 0
; COMPUTE_PGM_RSRC2:TGID_X_EN: 1
; COMPUTE_PGM_RSRC2:TGID_Y_EN: 0
; COMPUTE_PGM_RSRC2:TGID_Z_EN: 0
; COMPUTE_PGM_RSRC2:TIDIG_COMP_CNT: 0
	.section	.text._ZN9rocsparseL29bsrmmnt_small_blockdim_kernelILj64ELj8ELj2Eii21rocsparse_complex_numIdES2_S2_S2_EEv20rocsparse_direction_T3_S4_llNS_24const_host_device_scalarIT7_EEPKT2_PKS4_PKT4_PKT5_llS7_PT6_ll16rocsparse_order_21rocsparse_index_base_b,"axG",@progbits,_ZN9rocsparseL29bsrmmnt_small_blockdim_kernelILj64ELj8ELj2Eii21rocsparse_complex_numIdES2_S2_S2_EEv20rocsparse_direction_T3_S4_llNS_24const_host_device_scalarIT7_EEPKT2_PKS4_PKT4_PKT5_llS7_PT6_ll16rocsparse_order_21rocsparse_index_base_b,comdat
	.globl	_ZN9rocsparseL29bsrmmnt_small_blockdim_kernelILj64ELj8ELj2Eii21rocsparse_complex_numIdES2_S2_S2_EEv20rocsparse_direction_T3_S4_llNS_24const_host_device_scalarIT7_EEPKT2_PKS4_PKT4_PKT5_llS7_PT6_ll16rocsparse_order_21rocsparse_index_base_b ; -- Begin function _ZN9rocsparseL29bsrmmnt_small_blockdim_kernelILj64ELj8ELj2Eii21rocsparse_complex_numIdES2_S2_S2_EEv20rocsparse_direction_T3_S4_llNS_24const_host_device_scalarIT7_EEPKT2_PKS4_PKT4_PKT5_llS7_PT6_ll16rocsparse_order_21rocsparse_index_base_b
	.p2align	8
	.type	_ZN9rocsparseL29bsrmmnt_small_blockdim_kernelILj64ELj8ELj2Eii21rocsparse_complex_numIdES2_S2_S2_EEv20rocsparse_direction_T3_S4_llNS_24const_host_device_scalarIT7_EEPKT2_PKS4_PKT4_PKT5_llS7_PT6_ll16rocsparse_order_21rocsparse_index_base_b,@function
_ZN9rocsparseL29bsrmmnt_small_blockdim_kernelILj64ELj8ELj2Eii21rocsparse_complex_numIdES2_S2_S2_EEv20rocsparse_direction_T3_S4_llNS_24const_host_device_scalarIT7_EEPKT2_PKS4_PKT4_PKT5_llS7_PT6_ll16rocsparse_order_21rocsparse_index_base_b: ; @_ZN9rocsparseL29bsrmmnt_small_blockdim_kernelILj64ELj8ELj2Eii21rocsparse_complex_numIdES2_S2_S2_EEv20rocsparse_direction_T3_S4_llNS_24const_host_device_scalarIT7_EEPKT2_PKS4_PKT4_PKT5_llS7_PT6_ll16rocsparse_order_21rocsparse_index_base_b
; %bb.0:
	s_load_b128 s[16:19], s[2:3], 0x88
	s_load_b64 s[12:13], s[0:1], 0x4
	s_load_b128 s[8:11], s[2:3], 0x20
	v_bfe_u32 v2, v0, 10, 10
	s_mov_b64 s[0:1], src_shared_base
	s_load_b128 s[4:7], s[2:3], 0x60
	v_and_b32_e32 v1, 0x3ff, v0
	v_bfe_u32 v0, v0, 20, 10
	s_waitcnt lgkmcnt(0)
	s_bitcmp1_b32 s18, 0
	v_mul_u32_u24_e32 v2, s13, v2
	s_cselect_b32 s0, -1, 0
	v_mov_b32_e32 v10, s10
	s_and_b32 vcc_lo, s0, exec_lo
	s_cselect_b32 s1, s1, s9
	s_lshr_b32 s12, s12, 16
	v_dual_mov_b32 v4, s4 :: v_dual_mov_b32 v5, s5
	s_mul_i32 s12, s12, s13
	v_mov_b32_e32 v7, s1
	v_mad_u32_u24 v2, s12, v1, v2
	v_mov_b32_e32 v11, s11
	scratch_store_b64 off, v[4:5], off
	s_xor_b32 s1, s0, -1
	v_add_lshl_u32 v0, v2, v0, 3
	v_dual_mov_b32 v2, s8 :: v_dual_mov_b32 v3, s9
	s_delay_alu instid0(VALU_DEP_2)
	v_add_nc_u32_e32 v6, 0xd00, v0
	ds_store_b64 v0, v[2:3] offset:3328
	v_cndmask_b32_e64 v6, s8, v6, s0
	flat_load_b64 v[8:9], v[6:7]
	s_cbranch_vccnz .LBB57_2
; %bb.1:
	v_dual_mov_b32 v2, s8 :: v_dual_mov_b32 v3, s9
	flat_load_b64 v[10:11], v[2:3] offset:8
.LBB57_2:
	s_mov_b64 s[8:9], src_private_base
	s_and_b32 s8, s0, exec_lo
	s_cselect_b32 s8, s9, s5
	s_delay_alu instid0(SALU_CYCLE_1) | instskip(SKIP_2) | instid1(VALU_DEP_2)
	v_dual_mov_b32 v0, 0 :: v_dual_mov_b32 v3, s8
	v_dual_mov_b32 v15, s7 :: v_dual_mov_b32 v14, s6
	s_and_not1_b32 vcc_lo, exec_lo, s1
	v_cndmask_b32_e64 v2, s4, v0, s0
	flat_load_b64 v[12:13], v[2:3]
	s_cbranch_vccnz .LBB57_4
; %bb.3:
	v_dual_mov_b32 v2, s4 :: v_dual_mov_b32 v3, s5
	flat_load_b64 v[14:15], v[2:3] offset:8
.LBB57_4:
	s_waitcnt vmcnt(1) lgkmcnt(1)
	v_cmp_eq_f64_e32 vcc_lo, 0, v[8:9]
	v_cmp_eq_f64_e64 s0, 0, v[10:11]
	s_delay_alu instid0(VALU_DEP_1)
	s_and_b32 s4, vcc_lo, s0
	s_mov_b32 s0, -1
	s_and_saveexec_b32 s1, s4
	s_cbranch_execz .LBB57_6
; %bb.5:
	s_waitcnt vmcnt(0) lgkmcnt(0)
	v_cmp_neq_f64_e32 vcc_lo, 1.0, v[12:13]
	v_cmp_neq_f64_e64 s0, 0, v[14:15]
	s_delay_alu instid0(VALU_DEP_1) | instskip(NEXT) | instid1(SALU_CYCLE_1)
	s_or_b32 s0, vcc_lo, s0
	s_or_not1_b32 s0, s0, exec_lo
.LBB57_6:
	s_or_b32 exec_lo, exec_lo, s1
	s_and_saveexec_b32 s1, s0
	s_cbranch_execz .LBB57_31
; %bb.7:
	s_clause 0x1
	s_load_b32 s0, s[2:3], 0xa4
	s_load_b128 s[20:23], s[2:3], 0x0
	s_waitcnt lgkmcnt(0)
	s_and_b32 s0, s0, 0xffff
	s_delay_alu instid0(SALU_CYCLE_1) | instskip(NEXT) | instid1(VALU_DEP_1)
	v_mad_u64_u32 v[2:3], null, s15, s0, v[1:2]
	v_lshrrev_b32_e32 v0, 4, v2
	s_delay_alu instid0(VALU_DEP_1)
	v_cmp_gt_i32_e32 vcc_lo, s21, v0
	s_and_b32 exec_lo, exec_lo, vcc_lo
	s_cbranch_execz .LBB57_31
; %bb.8:
	s_cmp_lt_i32 s22, 1
	s_cbranch_scc1 .LBB57_31
; %bb.9:
	s_load_b256 s[4:11], s[2:3], 0x30
	v_dual_mov_b32 v17, 0 :: v_dual_lshlrev_b32 v0, 2, v0
	s_waitcnt vmcnt(0)
	v_cmp_neq_f64_e32 vcc_lo, 0, v[12:13]
	v_cmp_neq_f64_e64 s0, 0, v[14:15]
	s_load_b128 s[12:15], s[2:3], 0x70
	v_lshrrev_b32_e32 v16, 3, v2
	v_and_b32_e32 v28, 7, v1
	s_load_b64 s[2:3], s[2:3], 0x50
	v_lshrrev_b32_e32 v18, 3, v1
	v_bfe_u32 v2, v2, 3, 1
	s_delay_alu instid0(VALU_DEP_3) | instskip(NEXT) | instid1(VALU_DEP_3)
	v_mul_u32_u24_e32 v19, 3, v28
	v_lshl_or_b32 v29, v18, 5, 0xc00
	v_mul_u32_u24_e32 v30, 0x180, v18
	s_delay_alu instid0(VALU_DEP_2) | instskip(SKIP_3) | instid1(VALU_DEP_1)
	v_lshl_or_b32 v31, v28, 2, v29
	s_waitcnt lgkmcnt(0)
	global_load_b64 v[3:4], v0, s[4:5]
	v_mad_u64_u32 v[5:6], null, v16, s14, 0
	v_mov_b32_e32 v0, v6
	s_delay_alu instid0(VALU_DEP_1)
	v_mad_u64_u32 v[6:7], null, v16, s15, v[0:1]
	v_lshlrev_b32_e32 v7, 4, v19
	v_lshlrev_b64 v[0:1], 4, v[16:17]
	s_or_b32 s4, vcc_lo, s0
	s_cmp_lg_u32 s16, 1
	s_cselect_b32 s5, -1, 0
	s_cmp_eq_u32 s20, 0
	s_delay_alu instid0(VALU_DEP_3) | instskip(SKIP_4) | instid1(VALU_DEP_4)
	v_lshlrev_b64 v[5:6], 4, v[5:6]
	s_cselect_b32 s1, -1, 0
	v_add_co_u32 v33, vcc_lo, s12, v0
	v_cndmask_b32_e64 v0, 0, 1, s1
	v_add_co_ci_u32_e32 v34, vcc_lo, s13, v1, vcc_lo
	v_add_co_u32 v35, vcc_lo, s12, v5
	v_mad_u32_u24 v32, 0x180, v18, v7
	v_add_co_ci_u32_e32 v36, vcc_lo, s13, v6, vcc_lo
	v_lshlrev_b32_e32 v39, v0, v2
	s_and_b32 s1, s1, exec_lo
	s_mov_b32 s12, 0
	s_cselect_b32 s13, 1, 2
	s_waitcnt vmcnt(0)
	v_subrev_nc_u32_e32 v37, s17, v3
	v_subrev_nc_u32_e32 v38, s17, v4
	v_cmp_lt_i32_e64 s0, v3, v4
	s_branch .LBB57_11
.LBB57_10:                              ;   in Loop: Header=BB57_11 Depth=1
	s_or_b32 exec_lo, exec_lo, s1
	s_add_i32 s12, s12, 8
	s_delay_alu instid0(SALU_CYCLE_1)
	s_cmp_lt_i32 s12, s22
	s_cbranch_scc0 .LBB57_31
.LBB57_11:                              ; =>This Loop Header: Depth=1
                                        ;     Child Loop BB57_14 Depth 2
                                        ;       Child Loop BB57_18 Depth 3
	v_mov_b32_e32 v20, 0
	v_or_b32_e32 v18, s12, v28
	v_mov_b32_e32 v21, 0
	s_delay_alu instid0(VALU_DEP_2) | instskip(NEXT) | instid1(VALU_DEP_2)
	v_ashrrev_i32_e32 v19, 31, v18
	v_dual_mov_b32 v23, v21 :: v_dual_mov_b32 v22, v20
	s_and_saveexec_b32 s16, s0
	s_cbranch_execz .LBB57_20
; %bb.12:                               ;   in Loop: Header=BB57_11 Depth=1
	s_delay_alu instid0(VALU_DEP_2) | instskip(SKIP_3) | instid1(VALU_DEP_3)
	v_lshlrev_b64 v[0:1], 4, v[18:19]
	v_mov_b32_e32 v24, 0
	v_dual_mov_b32 v25, 0 :: v_dual_mov_b32 v42, v37
	v_cmp_gt_i32_e32 vcc_lo, s22, v18
	v_mov_b32_e32 v20, v24
	v_add_co_u32 v40, s1, s10, v0
	s_delay_alu instid0(VALU_DEP_4)
	v_mov_b32_e32 v21, v25
	v_add_co_ci_u32_e64 v41, s1, s11, v1, s1
	v_dual_mov_b32 v22, v24 :: v_dual_mov_b32 v23, v25
	s_mov_b32 s18, 0
	s_branch .LBB57_14
.LBB57_13:                              ;   in Loop: Header=BB57_14 Depth=2
	s_or_b32 exec_lo, exec_lo, s19
	v_add_nc_u32_e32 v42, 8, v42
	s_delay_alu instid0(VALU_DEP_1) | instskip(NEXT) | instid1(VALU_DEP_1)
	v_cmp_ge_i32_e64 s1, v42, v38
	s_or_b32 s18, s1, s18
	s_delay_alu instid0(SALU_CYCLE_1)
	s_and_not1_b32 exec_lo, exec_lo, s18
	s_cbranch_execz .LBB57_19
.LBB57_14:                              ;   Parent Loop BB57_11 Depth=1
                                        ; =>  This Loop Header: Depth=2
                                        ;       Child Loop BB57_18 Depth 3
	v_mov_b32_e32 v4, v24
	v_mov_b32_e32 v6, v24
	;; [unrolled: 1-line block ×3, first 2 shown]
	v_dual_mov_b32 v2, v24 :: v_dual_mov_b32 v3, v25
	v_dual_mov_b32 v5, v25 :: v_dual_add_nc_u32 v26, v42, v28
	v_dual_mov_b32 v16, 0 :: v_dual_mov_b32 v7, v25
	v_mov_b32_e32 v1, v25
	s_mov_b32 s19, exec_lo
	s_delay_alu instid0(VALU_DEP_3)
	v_cmpx_lt_i32_e64 v26, v38
	s_cbranch_execz .LBB57_16
; %bb.15:                               ;   in Loop: Header=BB57_14 Depth=2
	v_ashrrev_i32_e32 v27, 31, v26
	v_lshl_or_b32 v16, v26, 2, v39
	s_delay_alu instid0(VALU_DEP_2) | instskip(NEXT) | instid1(VALU_DEP_2)
	v_lshlrev_b64 v[0:1], 2, v[26:27]
	v_lshlrev_b64 v[2:3], 4, v[16:17]
	v_or_b32_e32 v16, s13, v16
	s_delay_alu instid0(VALU_DEP_3) | instskip(NEXT) | instid1(VALU_DEP_1)
	v_add_co_u32 v0, s1, s6, v0
	v_add_co_ci_u32_e64 v1, s1, s7, v1, s1
	s_delay_alu instid0(VALU_DEP_3) | instskip(SKIP_2) | instid1(VALU_DEP_1)
	v_lshlrev_b64 v[4:5], 4, v[16:17]
	global_load_b32 v16, v[0:1], off
	v_add_co_u32 v0, s1, s8, v2
	v_add_co_ci_u32_e64 v1, s1, s9, v3, s1
	v_add_co_u32 v2, s1, s8, v4
	s_delay_alu instid0(VALU_DEP_1)
	v_add_co_ci_u32_e64 v3, s1, s9, v5, s1
	s_clause 0x1
	global_load_b128 v[4:7], v[0:1], off
	global_load_b128 v[0:3], v[2:3], off
	s_waitcnt vmcnt(2)
	v_subrev_nc_u32_e32 v16, s17, v16
	s_delay_alu instid0(VALU_DEP_1)
	v_lshlrev_b32_e32 v16, 1, v16
.LBB57_16:                              ;   in Loop: Header=BB57_14 Depth=2
	s_or_b32 exec_lo, exec_lo, s19
	ds_store_b32 v31, v16
	s_waitcnt vmcnt(1)
	ds_store_b128 v32, v[4:7]
	s_waitcnt vmcnt(0)
	ds_store_b128 v32, v[0:3] offset:16
	s_waitcnt lgkmcnt(0)
	s_waitcnt_vscnt null, 0x0
	s_barrier
	buffer_gl0_inv
	s_and_saveexec_b32 s19, vcc_lo
	s_cbranch_execz .LBB57_13
; %bb.17:                               ;   in Loop: Header=BB57_14 Depth=2
	v_mov_b32_e32 v0, v30
	s_mov_b32 s20, 0
.LBB57_18:                              ;   Parent Loop BB57_11 Depth=1
                                        ;     Parent Loop BB57_14 Depth=2
                                        ; =>    This Inner Loop Header: Depth=3
	s_delay_alu instid0(SALU_CYCLE_1) | instskip(SKIP_1) | instid1(SALU_CYCLE_1)
	v_add_nc_u32_e32 v1, s20, v29
	s_add_i32 s20, s20, 8
	s_cmp_lg_u32 s20, 32
	ds_load_b64 v[5:6], v1
	s_waitcnt lgkmcnt(0)
	v_ashrrev_i32_e32 v3, 31, v5
	v_mul_lo_u32 v4, v5, s3
	v_mad_u64_u32 v[1:2], null, v5, s2, 0
	v_add_nc_u32_e32 v5, 1, v5
	s_delay_alu instid0(VALU_DEP_4) | instskip(NEXT) | instid1(VALU_DEP_2)
	v_mul_lo_u32 v3, v3, s2
	v_ashrrev_i32_e32 v7, 31, v5
	v_mul_lo_u32 v16, v5, s3
	v_mad_u64_u32 v[26:27], null, v5, s2, 0
	s_delay_alu instid0(VALU_DEP_4) | instskip(NEXT) | instid1(VALU_DEP_4)
	v_add3_u32 v2, v2, v4, v3
	v_mul_lo_u32 v5, v7, s2
	v_mul_lo_u32 v7, v6, s3
	s_delay_alu instid0(VALU_DEP_3) | instskip(NEXT) | instid1(VALU_DEP_3)
	v_lshlrev_b64 v[1:2], 4, v[1:2]
	v_add3_u32 v27, v27, v16, v5
	v_ashrrev_i32_e32 v5, 31, v6
	s_delay_alu instid0(VALU_DEP_3) | instskip(NEXT) | instid1(VALU_DEP_1)
	v_add_co_u32 v1, s1, v40, v1
	v_add_co_ci_u32_e64 v2, s1, v41, v2, s1
	s_delay_alu instid0(VALU_DEP_4) | instskip(NEXT) | instid1(VALU_DEP_4)
	v_lshlrev_b64 v[26:27], 4, v[26:27]
	v_mul_lo_u32 v5, v5, s2
	global_load_b128 v[1:4], v[1:2], off
	v_add_co_u32 v26, s1, v40, v26
	s_delay_alu instid0(VALU_DEP_1) | instskip(SKIP_2) | instid1(VALU_DEP_1)
	v_add_co_ci_u32_e64 v27, s1, v41, v27, s1
	global_load_b128 v[43:46], v[26:27], off
	v_mad_u64_u32 v[26:27], null, v6, s2, 0
	v_add3_u32 v27, v27, v7, v5
	v_add_nc_u32_e32 v7, 1, v6
	s_delay_alu instid0(VALU_DEP_2) | instskip(NEXT) | instid1(VALU_DEP_2)
	v_lshlrev_b64 v[26:27], 4, v[26:27]
	v_ashrrev_i32_e32 v16, 31, v7
	v_mad_u64_u32 v[5:6], null, v7, s2, 0
	s_delay_alu instid0(VALU_DEP_3) | instskip(NEXT) | instid1(VALU_DEP_1)
	v_add_co_u32 v26, s1, v40, v26
	v_add_co_ci_u32_e64 v27, s1, v41, v27, s1
	global_load_b128 v[47:50], v[26:27], off
	v_mul_lo_u32 v26, v7, s3
	v_mul_lo_u32 v7, v16, s2
	s_delay_alu instid0(VALU_DEP_1) | instskip(NEXT) | instid1(VALU_DEP_1)
	v_add3_u32 v6, v6, v26, v7
	v_lshlrev_b64 v[5:6], 4, v[5:6]
	s_delay_alu instid0(VALU_DEP_1) | instskip(NEXT) | instid1(VALU_DEP_1)
	v_add_co_u32 v5, s1, v40, v5
	v_add_co_ci_u32_e64 v6, s1, v41, v6, s1
	global_load_b128 v[51:54], v[5:6], off
	ds_load_b128 v[55:58], v0
	ds_load_b128 v[59:62], v0 offset:16
	s_waitcnt vmcnt(3) lgkmcnt(1)
	v_fma_f64 v[5:6], v[55:56], v[1:2], v[22:23]
	v_fma_f64 v[1:2], v[57:58], v[1:2], v[20:21]
	s_delay_alu instid0(VALU_DEP_2) | instskip(NEXT) | instid1(VALU_DEP_2)
	v_fma_f64 v[5:6], -v[57:58], v[3:4], v[5:6]
	v_fma_f64 v[1:2], v[55:56], v[3:4], v[1:2]
	s_waitcnt vmcnt(2) lgkmcnt(0)
	s_delay_alu instid0(VALU_DEP_2) | instskip(NEXT) | instid1(VALU_DEP_2)
	v_fma_f64 v[3:4], v[59:60], v[43:44], v[5:6]
	v_fma_f64 v[1:2], v[61:62], v[43:44], v[1:2]
	s_delay_alu instid0(VALU_DEP_2) | instskip(NEXT) | instid1(VALU_DEP_2)
	v_fma_f64 v[5:6], -v[61:62], v[45:46], v[3:4]
	v_fma_f64 v[26:27], v[59:60], v[45:46], v[1:2]
	ds_load_b128 v[1:4], v0 offset:48
	ds_load_b128 v[20:23], v0 offset:64
	v_add_nc_u32_e32 v0, 0x60, v0
	s_waitcnt vmcnt(1) lgkmcnt(1)
	v_fma_f64 v[5:6], v[1:2], v[47:48], v[5:6]
	v_fma_f64 v[26:27], v[3:4], v[47:48], v[26:27]
	s_delay_alu instid0(VALU_DEP_2) | instskip(NEXT) | instid1(VALU_DEP_2)
	v_fma_f64 v[3:4], -v[3:4], v[49:50], v[5:6]
	v_fma_f64 v[1:2], v[1:2], v[49:50], v[26:27]
	s_waitcnt vmcnt(0) lgkmcnt(0)
	s_delay_alu instid0(VALU_DEP_2) | instskip(NEXT) | instid1(VALU_DEP_2)
	v_fma_f64 v[3:4], v[20:21], v[51:52], v[3:4]
	v_fma_f64 v[1:2], v[22:23], v[51:52], v[1:2]
	s_delay_alu instid0(VALU_DEP_2) | instskip(NEXT) | instid1(VALU_DEP_2)
	v_fma_f64 v[22:23], -v[22:23], v[53:54], v[3:4]
	v_fma_f64 v[20:21], v[20:21], v[53:54], v[1:2]
	s_cbranch_scc1 .LBB57_18
	s_branch .LBB57_13
.LBB57_19:                              ;   in Loop: Header=BB57_11 Depth=1
	s_or_b32 exec_lo, exec_lo, s18
.LBB57_20:                              ;   in Loop: Header=BB57_11 Depth=1
	s_delay_alu instid0(SALU_CYCLE_1) | instskip(NEXT) | instid1(SALU_CYCLE_1)
	s_or_b32 exec_lo, exec_lo, s16
	s_mov_b32 s1, exec_lo
	v_cmpx_gt_i32_e64 s22, v18
	s_cbranch_execz .LBB57_10
; %bb.21:                               ;   in Loop: Header=BB57_11 Depth=1
	s_and_saveexec_b32 s16, s4
	s_delay_alu instid0(SALU_CYCLE_1)
	s_xor_b32 s16, exec_lo, s16
	s_cbranch_execz .LBB57_26
; %bb.22:                               ;   in Loop: Header=BB57_11 Depth=1
	s_and_b32 vcc_lo, exec_lo, s5
	s_mov_b32 s18, -1
	s_cbranch_vccz .LBB57_24
; %bb.23:                               ;   in Loop: Header=BB57_11 Depth=1
	v_lshlrev_b64 v[0:1], 4, v[18:19]
	v_mul_f64 v[6:7], v[20:21], -v[10:11]
	v_mul_f64 v[24:25], v[8:9], v[20:21]
	s_mov_b32 s18, 0
	s_delay_alu instid0(VALU_DEP_3) | instskip(NEXT) | instid1(VALU_DEP_4)
	v_add_co_u32 v4, vcc_lo, v35, v0
	v_add_co_ci_u32_e32 v5, vcc_lo, v36, v1, vcc_lo
	global_load_b128 v[0:3], v[4:5], off
	v_fma_f64 v[6:7], v[8:9], v[22:23], v[6:7]
	v_fma_f64 v[24:25], v[10:11], v[22:23], v[24:25]
	s_waitcnt vmcnt(0)
	s_delay_alu instid0(VALU_DEP_2) | instskip(NEXT) | instid1(VALU_DEP_2)
	v_fma_f64 v[6:7], v[12:13], v[0:1], v[6:7]
	v_fma_f64 v[24:25], v[14:15], v[0:1], v[24:25]
	s_delay_alu instid0(VALU_DEP_2) | instskip(NEXT) | instid1(VALU_DEP_2)
	v_fma_f64 v[0:1], -v[14:15], v[2:3], v[6:7]
	v_fma_f64 v[2:3], v[12:13], v[2:3], v[24:25]
	global_store_b128 v[4:5], v[0:3], off
.LBB57_24:                              ;   in Loop: Header=BB57_11 Depth=1
	s_and_not1_b32 vcc_lo, exec_lo, s18
	s_cbranch_vccnz .LBB57_26
; %bb.25:                               ;   in Loop: Header=BB57_11 Depth=1
	v_mul_lo_u32 v2, v19, s14
	v_mul_lo_u32 v3, v18, s15
	v_mad_u64_u32 v[0:1], null, v18, s14, 0
	v_mul_f64 v[6:7], v[20:21], -v[10:11]
	v_mul_f64 v[18:19], v[8:9], v[20:21]
                                        ; implicit-def: $vgpr20_vgpr21
	s_delay_alu instid0(VALU_DEP_3) | instskip(NEXT) | instid1(VALU_DEP_1)
	v_add3_u32 v1, v1, v3, v2
	v_lshlrev_b64 v[0:1], 4, v[0:1]
	s_delay_alu instid0(VALU_DEP_1) | instskip(NEXT) | instid1(VALU_DEP_2)
	v_add_co_u32 v4, vcc_lo, v33, v0
	v_add_co_ci_u32_e32 v5, vcc_lo, v34, v1, vcc_lo
	global_load_b128 v[0:3], v[4:5], off
	v_fma_f64 v[6:7], v[8:9], v[22:23], v[6:7]
	v_fma_f64 v[18:19], v[10:11], v[22:23], v[18:19]
                                        ; implicit-def: $vgpr22_vgpr23
	s_waitcnt vmcnt(0)
	s_delay_alu instid0(VALU_DEP_2) | instskip(NEXT) | instid1(VALU_DEP_2)
	v_fma_f64 v[6:7], v[12:13], v[0:1], v[6:7]
	v_fma_f64 v[18:19], v[14:15], v[0:1], v[18:19]
	s_delay_alu instid0(VALU_DEP_2) | instskip(NEXT) | instid1(VALU_DEP_2)
	v_fma_f64 v[0:1], -v[14:15], v[2:3], v[6:7]
	v_fma_f64 v[2:3], v[12:13], v[2:3], v[18:19]
                                        ; implicit-def: $vgpr18
	global_store_b128 v[4:5], v[0:3], off
.LBB57_26:                              ;   in Loop: Header=BB57_11 Depth=1
	s_and_not1_saveexec_b32 s16, s16
	s_cbranch_execz .LBB57_10
; %bb.27:                               ;   in Loop: Header=BB57_11 Depth=1
	s_delay_alu instid0(VALU_DEP_4) | instskip(SKIP_3) | instid1(VALU_DEP_2)
	v_mul_f64 v[0:1], v[20:21], -v[10:11]
	v_mul_f64 v[2:3], v[8:9], v[20:21]
	s_and_b32 vcc_lo, exec_lo, s5
	s_mov_b32 s16, -1
	v_fma_f64 v[0:1], v[8:9], v[22:23], v[0:1]
	s_delay_alu instid0(VALU_DEP_2)
	v_fma_f64 v[2:3], v[10:11], v[22:23], v[2:3]
	s_cbranch_vccz .LBB57_29
; %bb.28:                               ;   in Loop: Header=BB57_11 Depth=1
	v_lshlrev_b64 v[4:5], 4, v[18:19]
	s_mov_b32 s16, 0
	s_delay_alu instid0(VALU_DEP_1) | instskip(NEXT) | instid1(VALU_DEP_2)
	v_add_co_u32 v4, vcc_lo, v35, v4
	v_add_co_ci_u32_e32 v5, vcc_lo, v36, v5, vcc_lo
	global_store_b128 v[4:5], v[0:3], off
.LBB57_29:                              ;   in Loop: Header=BB57_11 Depth=1
	s_and_not1_b32 vcc_lo, exec_lo, s16
	s_cbranch_vccnz .LBB57_10
; %bb.30:                               ;   in Loop: Header=BB57_11 Depth=1
	v_mul_lo_u32 v6, v19, s14
	v_mul_lo_u32 v7, v18, s15
	v_mad_u64_u32 v[4:5], null, v18, s14, 0
	s_delay_alu instid0(VALU_DEP_1) | instskip(NEXT) | instid1(VALU_DEP_1)
	v_add3_u32 v5, v5, v7, v6
	v_lshlrev_b64 v[4:5], 4, v[4:5]
	s_delay_alu instid0(VALU_DEP_1) | instskip(NEXT) | instid1(VALU_DEP_2)
	v_add_co_u32 v4, vcc_lo, v33, v4
	v_add_co_ci_u32_e32 v5, vcc_lo, v34, v5, vcc_lo
	global_store_b128 v[4:5], v[0:3], off
	s_branch .LBB57_10
.LBB57_31:
	s_endpgm
	.section	.rodata,"a",@progbits
	.p2align	6, 0x0
	.amdhsa_kernel _ZN9rocsparseL29bsrmmnt_small_blockdim_kernelILj64ELj8ELj2Eii21rocsparse_complex_numIdES2_S2_S2_EEv20rocsparse_direction_T3_S4_llNS_24const_host_device_scalarIT7_EEPKT2_PKS4_PKT4_PKT5_llS7_PT6_ll16rocsparse_order_21rocsparse_index_base_b
		.amdhsa_group_segment_fixed_size 3840
		.amdhsa_private_segment_fixed_size 16
		.amdhsa_kernarg_size 408
		.amdhsa_user_sgpr_count 15
		.amdhsa_user_sgpr_dispatch_ptr 1
		.amdhsa_user_sgpr_queue_ptr 0
		.amdhsa_user_sgpr_kernarg_segment_ptr 1
		.amdhsa_user_sgpr_dispatch_id 0
		.amdhsa_user_sgpr_private_segment_size 0
		.amdhsa_wavefront_size32 1
		.amdhsa_uses_dynamic_stack 0
		.amdhsa_enable_private_segment 1
		.amdhsa_system_sgpr_workgroup_id_x 1
		.amdhsa_system_sgpr_workgroup_id_y 0
		.amdhsa_system_sgpr_workgroup_id_z 0
		.amdhsa_system_sgpr_workgroup_info 0
		.amdhsa_system_vgpr_workitem_id 2
		.amdhsa_next_free_vgpr 63
		.amdhsa_next_free_sgpr 24
		.amdhsa_reserve_vcc 1
		.amdhsa_float_round_mode_32 0
		.amdhsa_float_round_mode_16_64 0
		.amdhsa_float_denorm_mode_32 3
		.amdhsa_float_denorm_mode_16_64 3
		.amdhsa_dx10_clamp 1
		.amdhsa_ieee_mode 1
		.amdhsa_fp16_overflow 0
		.amdhsa_workgroup_processor_mode 1
		.amdhsa_memory_ordered 1
		.amdhsa_forward_progress 0
		.amdhsa_shared_vgpr_count 0
		.amdhsa_exception_fp_ieee_invalid_op 0
		.amdhsa_exception_fp_denorm_src 0
		.amdhsa_exception_fp_ieee_div_zero 0
		.amdhsa_exception_fp_ieee_overflow 0
		.amdhsa_exception_fp_ieee_underflow 0
		.amdhsa_exception_fp_ieee_inexact 0
		.amdhsa_exception_int_div_zero 0
	.end_amdhsa_kernel
	.section	.text._ZN9rocsparseL29bsrmmnt_small_blockdim_kernelILj64ELj8ELj2Eii21rocsparse_complex_numIdES2_S2_S2_EEv20rocsparse_direction_T3_S4_llNS_24const_host_device_scalarIT7_EEPKT2_PKS4_PKT4_PKT5_llS7_PT6_ll16rocsparse_order_21rocsparse_index_base_b,"axG",@progbits,_ZN9rocsparseL29bsrmmnt_small_blockdim_kernelILj64ELj8ELj2Eii21rocsparse_complex_numIdES2_S2_S2_EEv20rocsparse_direction_T3_S4_llNS_24const_host_device_scalarIT7_EEPKT2_PKS4_PKT4_PKT5_llS7_PT6_ll16rocsparse_order_21rocsparse_index_base_b,comdat
.Lfunc_end57:
	.size	_ZN9rocsparseL29bsrmmnt_small_blockdim_kernelILj64ELj8ELj2Eii21rocsparse_complex_numIdES2_S2_S2_EEv20rocsparse_direction_T3_S4_llNS_24const_host_device_scalarIT7_EEPKT2_PKS4_PKT4_PKT5_llS7_PT6_ll16rocsparse_order_21rocsparse_index_base_b, .Lfunc_end57-_ZN9rocsparseL29bsrmmnt_small_blockdim_kernelILj64ELj8ELj2Eii21rocsparse_complex_numIdES2_S2_S2_EEv20rocsparse_direction_T3_S4_llNS_24const_host_device_scalarIT7_EEPKT2_PKS4_PKT4_PKT5_llS7_PT6_ll16rocsparse_order_21rocsparse_index_base_b
                                        ; -- End function
	.section	.AMDGPU.csdata,"",@progbits
; Kernel info:
; codeLenInByte = 2220
; NumSgprs: 26
; NumVgprs: 63
; ScratchSize: 16
; MemoryBound: 0
; FloatMode: 240
; IeeeMode: 1
; LDSByteSize: 3840 bytes/workgroup (compile time only)
; SGPRBlocks: 3
; VGPRBlocks: 7
; NumSGPRsForWavesPerEU: 26
; NumVGPRsForWavesPerEU: 63
; Occupancy: 16
; WaveLimiterHint : 0
; COMPUTE_PGM_RSRC2:SCRATCH_EN: 1
; COMPUTE_PGM_RSRC2:USER_SGPR: 15
; COMPUTE_PGM_RSRC2:TRAP_HANDLER: 0
; COMPUTE_PGM_RSRC2:TGID_X_EN: 1
; COMPUTE_PGM_RSRC2:TGID_Y_EN: 0
; COMPUTE_PGM_RSRC2:TGID_Z_EN: 0
; COMPUTE_PGM_RSRC2:TIDIG_COMP_CNT: 2
	.section	.text._ZN9rocsparseL29bsrmmnt_small_blockdim_kernelILj64ELj16ELj2Eii21rocsparse_complex_numIdES2_S2_S2_EEv20rocsparse_direction_T3_S4_llNS_24const_host_device_scalarIT7_EEPKT2_PKS4_PKT4_PKT5_llS7_PT6_ll16rocsparse_order_21rocsparse_index_base_b,"axG",@progbits,_ZN9rocsparseL29bsrmmnt_small_blockdim_kernelILj64ELj16ELj2Eii21rocsparse_complex_numIdES2_S2_S2_EEv20rocsparse_direction_T3_S4_llNS_24const_host_device_scalarIT7_EEPKT2_PKS4_PKT4_PKT5_llS7_PT6_ll16rocsparse_order_21rocsparse_index_base_b,comdat
	.globl	_ZN9rocsparseL29bsrmmnt_small_blockdim_kernelILj64ELj16ELj2Eii21rocsparse_complex_numIdES2_S2_S2_EEv20rocsparse_direction_T3_S4_llNS_24const_host_device_scalarIT7_EEPKT2_PKS4_PKT4_PKT5_llS7_PT6_ll16rocsparse_order_21rocsparse_index_base_b ; -- Begin function _ZN9rocsparseL29bsrmmnt_small_blockdim_kernelILj64ELj16ELj2Eii21rocsparse_complex_numIdES2_S2_S2_EEv20rocsparse_direction_T3_S4_llNS_24const_host_device_scalarIT7_EEPKT2_PKS4_PKT4_PKT5_llS7_PT6_ll16rocsparse_order_21rocsparse_index_base_b
	.p2align	8
	.type	_ZN9rocsparseL29bsrmmnt_small_blockdim_kernelILj64ELj16ELj2Eii21rocsparse_complex_numIdES2_S2_S2_EEv20rocsparse_direction_T3_S4_llNS_24const_host_device_scalarIT7_EEPKT2_PKS4_PKT4_PKT5_llS7_PT6_ll16rocsparse_order_21rocsparse_index_base_b,@function
_ZN9rocsparseL29bsrmmnt_small_blockdim_kernelILj64ELj16ELj2Eii21rocsparse_complex_numIdES2_S2_S2_EEv20rocsparse_direction_T3_S4_llNS_24const_host_device_scalarIT7_EEPKT2_PKS4_PKT4_PKT5_llS7_PT6_ll16rocsparse_order_21rocsparse_index_base_b: ; @_ZN9rocsparseL29bsrmmnt_small_blockdim_kernelILj64ELj16ELj2Eii21rocsparse_complex_numIdES2_S2_S2_EEv20rocsparse_direction_T3_S4_llNS_24const_host_device_scalarIT7_EEPKT2_PKS4_PKT4_PKT5_llS7_PT6_ll16rocsparse_order_21rocsparse_index_base_b
; %bb.0:
	s_load_b128 s[16:19], s[2:3], 0x88
	s_load_b64 s[12:13], s[0:1], 0x4
	s_load_b128 s[8:11], s[2:3], 0x20
	v_bfe_u32 v2, v0, 10, 10
	s_mov_b64 s[0:1], src_shared_base
	s_load_b128 s[4:7], s[2:3], 0x60
	v_and_b32_e32 v1, 0x3ff, v0
	v_bfe_u32 v0, v0, 20, 10
	s_waitcnt lgkmcnt(0)
	s_bitcmp1_b32 s18, 0
	v_mul_u32_u24_e32 v2, s13, v2
	s_cselect_b32 s0, -1, 0
	v_mov_b32_e32 v10, s10
	s_and_b32 vcc_lo, s0, exec_lo
	s_cselect_b32 s1, s1, s9
	s_lshr_b32 s12, s12, 16
	v_dual_mov_b32 v4, s4 :: v_dual_mov_b32 v5, s5
	s_mul_i32 s12, s12, s13
	v_mov_b32_e32 v7, s1
	v_mad_u32_u24 v2, s12, v1, v2
	v_mov_b32_e32 v11, s11
	scratch_store_b64 off, v[4:5], off
	s_xor_b32 s1, s0, -1
	v_add_lshl_u32 v0, v2, v0, 3
	v_dual_mov_b32 v2, s8 :: v_dual_mov_b32 v3, s9
	s_delay_alu instid0(VALU_DEP_2)
	v_add_nc_u32_e32 v6, 0xd00, v0
	ds_store_b64 v0, v[2:3] offset:3328
	v_cndmask_b32_e64 v6, s8, v6, s0
	flat_load_b64 v[8:9], v[6:7]
	s_cbranch_vccnz .LBB58_2
; %bb.1:
	v_dual_mov_b32 v2, s8 :: v_dual_mov_b32 v3, s9
	flat_load_b64 v[10:11], v[2:3] offset:8
.LBB58_2:
	s_mov_b64 s[8:9], src_private_base
	s_and_b32 s8, s0, exec_lo
	s_cselect_b32 s8, s9, s5
	s_delay_alu instid0(SALU_CYCLE_1) | instskip(SKIP_2) | instid1(VALU_DEP_2)
	v_dual_mov_b32 v0, 0 :: v_dual_mov_b32 v3, s8
	v_dual_mov_b32 v15, s7 :: v_dual_mov_b32 v14, s6
	s_and_not1_b32 vcc_lo, exec_lo, s1
	v_cndmask_b32_e64 v2, s4, v0, s0
	flat_load_b64 v[12:13], v[2:3]
	s_cbranch_vccnz .LBB58_4
; %bb.3:
	v_dual_mov_b32 v2, s4 :: v_dual_mov_b32 v3, s5
	flat_load_b64 v[14:15], v[2:3] offset:8
.LBB58_4:
	s_waitcnt vmcnt(1) lgkmcnt(1)
	v_cmp_eq_f64_e32 vcc_lo, 0, v[8:9]
	v_cmp_eq_f64_e64 s0, 0, v[10:11]
	s_delay_alu instid0(VALU_DEP_1)
	s_and_b32 s4, vcc_lo, s0
	s_mov_b32 s0, -1
	s_and_saveexec_b32 s1, s4
	s_cbranch_execz .LBB58_6
; %bb.5:
	s_waitcnt vmcnt(0) lgkmcnt(0)
	v_cmp_neq_f64_e32 vcc_lo, 1.0, v[12:13]
	v_cmp_neq_f64_e64 s0, 0, v[14:15]
	s_delay_alu instid0(VALU_DEP_1) | instskip(NEXT) | instid1(SALU_CYCLE_1)
	s_or_b32 s0, vcc_lo, s0
	s_or_not1_b32 s0, s0, exec_lo
.LBB58_6:
	s_or_b32 exec_lo, exec_lo, s1
	s_and_saveexec_b32 s1, s0
	s_cbranch_execz .LBB58_31
; %bb.7:
	s_clause 0x1
	s_load_b32 s0, s[2:3], 0xa4
	s_load_b128 s[20:23], s[2:3], 0x0
	s_waitcnt lgkmcnt(0)
	s_and_b32 s0, s0, 0xffff
	s_delay_alu instid0(SALU_CYCLE_1) | instskip(NEXT) | instid1(VALU_DEP_1)
	v_mad_u64_u32 v[2:3], null, s15, s0, v[1:2]
	v_lshrrev_b32_e32 v0, 5, v2
	s_delay_alu instid0(VALU_DEP_1)
	v_cmp_gt_i32_e32 vcc_lo, s21, v0
	s_and_b32 exec_lo, exec_lo, vcc_lo
	s_cbranch_execz .LBB58_31
; %bb.8:
	s_cmp_lt_i32 s22, 1
	s_cbranch_scc1 .LBB58_31
; %bb.9:
	s_load_b256 s[4:11], s[2:3], 0x30
	v_lshlrev_b32_e32 v0, 2, v0
	s_waitcnt vmcnt(0)
	v_cmp_neq_f64_e32 vcc_lo, 0, v[12:13]
	v_cmp_neq_f64_e64 s0, 0, v[14:15]
	s_load_b128 s[12:15], s[2:3], 0x70
	v_lshrrev_b32_e32 v7, 4, v2
	v_and_b32_e32 v28, 15, v1
	v_bfe_u32 v16, v2, 4, 1
	v_lshrrev_b32_e32 v17, 4, v1
	v_and_b32_e32 v18, -16, v2
	s_load_b64 s[2:3], s[2:3], 0x50
	s_delay_alu instid0(VALU_DEP_2) | instskip(SKIP_1) | instid1(VALU_DEP_2)
	v_lshl_or_b32 v29, v17, 6, 0xc00
	v_mul_u32_u24_e32 v30, 0x300, v17
	v_lshl_or_b32 v31, v28, 2, v29
	s_waitcnt lgkmcnt(0)
	global_load_b64 v[3:4], v0, s[4:5]
	v_mad_u64_u32 v[5:6], null, v7, s14, 0
	s_delay_alu instid0(VALU_DEP_1) | instskip(SKIP_1) | instid1(VALU_DEP_2)
	v_mov_b32_e32 v0, v6
	v_mul_u32_u24_e32 v6, 3, v28
	v_mad_u64_u32 v[1:2], null, v7, s15, v[0:1]
	s_delay_alu instid0(VALU_DEP_2)
	v_lshlrev_b32_e32 v0, 4, v6
	s_or_b32 s4, vcc_lo, s0
	s_cmp_lg_u32 s16, 1
	v_add_co_u32 v33, s0, s12, v18
	s_cselect_b32 s5, -1, 0
	s_cmp_eq_u32 s20, 0
	v_mad_u32_u24 v32, 0x300, v17, v0
	v_mov_b32_e32 v17, 0
	s_cselect_b32 s1, -1, 0
	v_add_co_ci_u32_e64 v34, null, s13, 0, s0
	v_cndmask_b32_e64 v2, 0, 1, s1
	v_mov_b32_e32 v6, v1
	s_and_b32 s1, s1, exec_lo
	s_delay_alu instid0(VALU_DEP_2) | instskip(NEXT) | instid1(VALU_DEP_2)
	v_lshlrev_b32_e32 v35, v2, v16
	v_lshlrev_b64 v[0:1], 4, v[5:6]
	s_delay_alu instid0(VALU_DEP_1) | instskip(NEXT) | instid1(VALU_DEP_2)
	v_add_co_u32 v36, vcc_lo, s12, v0
	v_add_co_ci_u32_e32 v37, vcc_lo, s13, v1, vcc_lo
	s_mov_b32 s12, 0
	s_cselect_b32 s13, 1, 2
	s_waitcnt vmcnt(0)
	v_subrev_nc_u32_e32 v38, s17, v3
	v_subrev_nc_u32_e32 v39, s17, v4
	v_cmp_lt_i32_e64 s0, v3, v4
	s_branch .LBB58_11
.LBB58_10:                              ;   in Loop: Header=BB58_11 Depth=1
	s_or_b32 exec_lo, exec_lo, s1
	s_add_i32 s12, s12, 16
	s_delay_alu instid0(SALU_CYCLE_1)
	s_cmp_lt_i32 s12, s22
	s_cbranch_scc0 .LBB58_31
.LBB58_11:                              ; =>This Loop Header: Depth=1
                                        ;     Child Loop BB58_14 Depth 2
                                        ;       Child Loop BB58_18 Depth 3
	v_mov_b32_e32 v20, 0
	v_or_b32_e32 v18, s12, v28
	v_mov_b32_e32 v21, 0
	s_delay_alu instid0(VALU_DEP_2) | instskip(NEXT) | instid1(VALU_DEP_2)
	v_ashrrev_i32_e32 v19, 31, v18
	v_dual_mov_b32 v23, v21 :: v_dual_mov_b32 v22, v20
	s_and_saveexec_b32 s16, s0
	s_cbranch_execz .LBB58_20
; %bb.12:                               ;   in Loop: Header=BB58_11 Depth=1
	s_delay_alu instid0(VALU_DEP_2) | instskip(SKIP_3) | instid1(VALU_DEP_3)
	v_lshlrev_b64 v[0:1], 4, v[18:19]
	v_mov_b32_e32 v24, 0
	v_dual_mov_b32 v25, 0 :: v_dual_mov_b32 v42, v38
	v_cmp_gt_i32_e32 vcc_lo, s22, v18
	v_mov_b32_e32 v20, v24
	v_add_co_u32 v40, s1, s10, v0
	s_delay_alu instid0(VALU_DEP_4)
	v_mov_b32_e32 v21, v25
	v_add_co_ci_u32_e64 v41, s1, s11, v1, s1
	v_dual_mov_b32 v22, v24 :: v_dual_mov_b32 v23, v25
	s_mov_b32 s18, 0
	s_branch .LBB58_14
.LBB58_13:                              ;   in Loop: Header=BB58_14 Depth=2
	s_or_b32 exec_lo, exec_lo, s19
	v_add_nc_u32_e32 v42, 16, v42
	s_delay_alu instid0(VALU_DEP_1) | instskip(NEXT) | instid1(VALU_DEP_1)
	v_cmp_ge_i32_e64 s1, v42, v39
	s_or_b32 s18, s1, s18
	s_delay_alu instid0(SALU_CYCLE_1)
	s_and_not1_b32 exec_lo, exec_lo, s18
	s_cbranch_execz .LBB58_19
.LBB58_14:                              ;   Parent Loop BB58_11 Depth=1
                                        ; =>  This Loop Header: Depth=2
                                        ;       Child Loop BB58_18 Depth 3
	v_mov_b32_e32 v4, v24
	v_mov_b32_e32 v6, v24
	;; [unrolled: 1-line block ×3, first 2 shown]
	v_dual_mov_b32 v2, v24 :: v_dual_mov_b32 v3, v25
	v_dual_mov_b32 v5, v25 :: v_dual_add_nc_u32 v26, v42, v28
	v_dual_mov_b32 v16, 0 :: v_dual_mov_b32 v7, v25
	v_mov_b32_e32 v1, v25
	s_mov_b32 s19, exec_lo
	s_delay_alu instid0(VALU_DEP_3)
	v_cmpx_lt_i32_e64 v26, v39
	s_cbranch_execz .LBB58_16
; %bb.15:                               ;   in Loop: Header=BB58_14 Depth=2
	v_ashrrev_i32_e32 v27, 31, v26
	v_lshl_or_b32 v16, v26, 2, v35
	s_delay_alu instid0(VALU_DEP_2) | instskip(NEXT) | instid1(VALU_DEP_2)
	v_lshlrev_b64 v[0:1], 2, v[26:27]
	v_lshlrev_b64 v[2:3], 4, v[16:17]
	v_or_b32_e32 v16, s13, v16
	s_delay_alu instid0(VALU_DEP_3) | instskip(NEXT) | instid1(VALU_DEP_1)
	v_add_co_u32 v0, s1, s6, v0
	v_add_co_ci_u32_e64 v1, s1, s7, v1, s1
	s_delay_alu instid0(VALU_DEP_3) | instskip(SKIP_2) | instid1(VALU_DEP_1)
	v_lshlrev_b64 v[4:5], 4, v[16:17]
	global_load_b32 v16, v[0:1], off
	v_add_co_u32 v0, s1, s8, v2
	v_add_co_ci_u32_e64 v1, s1, s9, v3, s1
	v_add_co_u32 v2, s1, s8, v4
	s_delay_alu instid0(VALU_DEP_1)
	v_add_co_ci_u32_e64 v3, s1, s9, v5, s1
	s_clause 0x1
	global_load_b128 v[4:7], v[0:1], off
	global_load_b128 v[0:3], v[2:3], off
	s_waitcnt vmcnt(2)
	v_subrev_nc_u32_e32 v16, s17, v16
	s_delay_alu instid0(VALU_DEP_1)
	v_lshlrev_b32_e32 v16, 1, v16
.LBB58_16:                              ;   in Loop: Header=BB58_14 Depth=2
	s_or_b32 exec_lo, exec_lo, s19
	ds_store_b32 v31, v16
	s_waitcnt vmcnt(1)
	ds_store_b128 v32, v[4:7]
	s_waitcnt vmcnt(0)
	ds_store_b128 v32, v[0:3] offset:16
	s_waitcnt lgkmcnt(0)
	s_waitcnt_vscnt null, 0x0
	s_barrier
	buffer_gl0_inv
	s_and_saveexec_b32 s19, vcc_lo
	s_cbranch_execz .LBB58_13
; %bb.17:                               ;   in Loop: Header=BB58_14 Depth=2
	v_mov_b32_e32 v0, v30
	s_mov_b32 s20, 0
.LBB58_18:                              ;   Parent Loop BB58_11 Depth=1
                                        ;     Parent Loop BB58_14 Depth=2
                                        ; =>    This Inner Loop Header: Depth=3
	s_delay_alu instid0(SALU_CYCLE_1) | instskip(SKIP_1) | instid1(SALU_CYCLE_1)
	v_add_nc_u32_e32 v1, s20, v29
	s_add_i32 s20, s20, 8
	s_cmp_lg_u32 s20, 64
	ds_load_b64 v[5:6], v1
	s_waitcnt lgkmcnt(0)
	v_ashrrev_i32_e32 v3, 31, v5
	v_mul_lo_u32 v4, v5, s3
	v_mad_u64_u32 v[1:2], null, v5, s2, 0
	v_add_nc_u32_e32 v5, 1, v5
	s_delay_alu instid0(VALU_DEP_4) | instskip(NEXT) | instid1(VALU_DEP_2)
	v_mul_lo_u32 v3, v3, s2
	v_ashrrev_i32_e32 v7, 31, v5
	v_mul_lo_u32 v16, v5, s3
	v_mad_u64_u32 v[26:27], null, v5, s2, 0
	s_delay_alu instid0(VALU_DEP_4) | instskip(NEXT) | instid1(VALU_DEP_4)
	v_add3_u32 v2, v2, v4, v3
	v_mul_lo_u32 v5, v7, s2
	v_mul_lo_u32 v7, v6, s3
	s_delay_alu instid0(VALU_DEP_3) | instskip(NEXT) | instid1(VALU_DEP_3)
	v_lshlrev_b64 v[1:2], 4, v[1:2]
	v_add3_u32 v27, v27, v16, v5
	v_ashrrev_i32_e32 v5, 31, v6
	s_delay_alu instid0(VALU_DEP_3) | instskip(NEXT) | instid1(VALU_DEP_1)
	v_add_co_u32 v1, s1, v40, v1
	v_add_co_ci_u32_e64 v2, s1, v41, v2, s1
	s_delay_alu instid0(VALU_DEP_4) | instskip(NEXT) | instid1(VALU_DEP_4)
	v_lshlrev_b64 v[26:27], 4, v[26:27]
	v_mul_lo_u32 v5, v5, s2
	global_load_b128 v[1:4], v[1:2], off
	v_add_co_u32 v26, s1, v40, v26
	s_delay_alu instid0(VALU_DEP_1) | instskip(SKIP_2) | instid1(VALU_DEP_1)
	v_add_co_ci_u32_e64 v27, s1, v41, v27, s1
	global_load_b128 v[43:46], v[26:27], off
	v_mad_u64_u32 v[26:27], null, v6, s2, 0
	v_add3_u32 v27, v27, v7, v5
	v_add_nc_u32_e32 v7, 1, v6
	s_delay_alu instid0(VALU_DEP_2) | instskip(NEXT) | instid1(VALU_DEP_2)
	v_lshlrev_b64 v[26:27], 4, v[26:27]
	v_ashrrev_i32_e32 v16, 31, v7
	v_mad_u64_u32 v[5:6], null, v7, s2, 0
	s_delay_alu instid0(VALU_DEP_3) | instskip(NEXT) | instid1(VALU_DEP_1)
	v_add_co_u32 v26, s1, v40, v26
	v_add_co_ci_u32_e64 v27, s1, v41, v27, s1
	global_load_b128 v[47:50], v[26:27], off
	v_mul_lo_u32 v26, v7, s3
	v_mul_lo_u32 v7, v16, s2
	s_delay_alu instid0(VALU_DEP_1) | instskip(NEXT) | instid1(VALU_DEP_1)
	v_add3_u32 v6, v6, v26, v7
	v_lshlrev_b64 v[5:6], 4, v[5:6]
	s_delay_alu instid0(VALU_DEP_1) | instskip(NEXT) | instid1(VALU_DEP_1)
	v_add_co_u32 v5, s1, v40, v5
	v_add_co_ci_u32_e64 v6, s1, v41, v6, s1
	global_load_b128 v[51:54], v[5:6], off
	ds_load_b128 v[55:58], v0
	ds_load_b128 v[59:62], v0 offset:16
	s_waitcnt vmcnt(3) lgkmcnt(1)
	v_fma_f64 v[5:6], v[55:56], v[1:2], v[22:23]
	v_fma_f64 v[1:2], v[57:58], v[1:2], v[20:21]
	s_delay_alu instid0(VALU_DEP_2) | instskip(NEXT) | instid1(VALU_DEP_2)
	v_fma_f64 v[5:6], -v[57:58], v[3:4], v[5:6]
	v_fma_f64 v[1:2], v[55:56], v[3:4], v[1:2]
	s_waitcnt vmcnt(2) lgkmcnt(0)
	s_delay_alu instid0(VALU_DEP_2) | instskip(NEXT) | instid1(VALU_DEP_2)
	v_fma_f64 v[3:4], v[59:60], v[43:44], v[5:6]
	v_fma_f64 v[1:2], v[61:62], v[43:44], v[1:2]
	s_delay_alu instid0(VALU_DEP_2) | instskip(NEXT) | instid1(VALU_DEP_2)
	v_fma_f64 v[5:6], -v[61:62], v[45:46], v[3:4]
	v_fma_f64 v[26:27], v[59:60], v[45:46], v[1:2]
	ds_load_b128 v[1:4], v0 offset:48
	ds_load_b128 v[20:23], v0 offset:64
	v_add_nc_u32_e32 v0, 0x60, v0
	s_waitcnt vmcnt(1) lgkmcnt(1)
	v_fma_f64 v[5:6], v[1:2], v[47:48], v[5:6]
	v_fma_f64 v[26:27], v[3:4], v[47:48], v[26:27]
	s_delay_alu instid0(VALU_DEP_2) | instskip(NEXT) | instid1(VALU_DEP_2)
	v_fma_f64 v[3:4], -v[3:4], v[49:50], v[5:6]
	v_fma_f64 v[1:2], v[1:2], v[49:50], v[26:27]
	s_waitcnt vmcnt(0) lgkmcnt(0)
	s_delay_alu instid0(VALU_DEP_2) | instskip(NEXT) | instid1(VALU_DEP_2)
	v_fma_f64 v[3:4], v[20:21], v[51:52], v[3:4]
	v_fma_f64 v[1:2], v[22:23], v[51:52], v[1:2]
	s_delay_alu instid0(VALU_DEP_2) | instskip(NEXT) | instid1(VALU_DEP_2)
	v_fma_f64 v[22:23], -v[22:23], v[53:54], v[3:4]
	v_fma_f64 v[20:21], v[20:21], v[53:54], v[1:2]
	s_cbranch_scc1 .LBB58_18
	s_branch .LBB58_13
.LBB58_19:                              ;   in Loop: Header=BB58_11 Depth=1
	s_or_b32 exec_lo, exec_lo, s18
.LBB58_20:                              ;   in Loop: Header=BB58_11 Depth=1
	s_delay_alu instid0(SALU_CYCLE_1) | instskip(NEXT) | instid1(SALU_CYCLE_1)
	s_or_b32 exec_lo, exec_lo, s16
	s_mov_b32 s1, exec_lo
	v_cmpx_gt_i32_e64 s22, v18
	s_cbranch_execz .LBB58_10
; %bb.21:                               ;   in Loop: Header=BB58_11 Depth=1
	s_and_saveexec_b32 s16, s4
	s_delay_alu instid0(SALU_CYCLE_1)
	s_xor_b32 s16, exec_lo, s16
	s_cbranch_execz .LBB58_26
; %bb.22:                               ;   in Loop: Header=BB58_11 Depth=1
	s_and_b32 vcc_lo, exec_lo, s5
	s_mov_b32 s18, -1
	s_cbranch_vccz .LBB58_24
; %bb.23:                               ;   in Loop: Header=BB58_11 Depth=1
	v_lshlrev_b64 v[0:1], 4, v[18:19]
	v_mul_f64 v[6:7], v[20:21], -v[10:11]
	v_mul_f64 v[24:25], v[8:9], v[20:21]
	s_mov_b32 s18, 0
	s_delay_alu instid0(VALU_DEP_3) | instskip(NEXT) | instid1(VALU_DEP_4)
	v_add_co_u32 v4, vcc_lo, v36, v0
	v_add_co_ci_u32_e32 v5, vcc_lo, v37, v1, vcc_lo
	global_load_b128 v[0:3], v[4:5], off
	v_fma_f64 v[6:7], v[8:9], v[22:23], v[6:7]
	v_fma_f64 v[24:25], v[10:11], v[22:23], v[24:25]
	s_waitcnt vmcnt(0)
	s_delay_alu instid0(VALU_DEP_2) | instskip(NEXT) | instid1(VALU_DEP_2)
	v_fma_f64 v[6:7], v[12:13], v[0:1], v[6:7]
	v_fma_f64 v[24:25], v[14:15], v[0:1], v[24:25]
	s_delay_alu instid0(VALU_DEP_2) | instskip(NEXT) | instid1(VALU_DEP_2)
	v_fma_f64 v[0:1], -v[14:15], v[2:3], v[6:7]
	v_fma_f64 v[2:3], v[12:13], v[2:3], v[24:25]
	global_store_b128 v[4:5], v[0:3], off
.LBB58_24:                              ;   in Loop: Header=BB58_11 Depth=1
	s_and_not1_b32 vcc_lo, exec_lo, s18
	s_cbranch_vccnz .LBB58_26
; %bb.25:                               ;   in Loop: Header=BB58_11 Depth=1
	v_mul_lo_u32 v2, v19, s14
	v_mul_lo_u32 v3, v18, s15
	v_mad_u64_u32 v[0:1], null, v18, s14, 0
	v_mul_f64 v[6:7], v[20:21], -v[10:11]
	v_mul_f64 v[18:19], v[8:9], v[20:21]
                                        ; implicit-def: $vgpr20_vgpr21
	s_delay_alu instid0(VALU_DEP_3) | instskip(NEXT) | instid1(VALU_DEP_1)
	v_add3_u32 v1, v1, v3, v2
	v_lshlrev_b64 v[0:1], 4, v[0:1]
	s_delay_alu instid0(VALU_DEP_1) | instskip(NEXT) | instid1(VALU_DEP_2)
	v_add_co_u32 v4, vcc_lo, v33, v0
	v_add_co_ci_u32_e32 v5, vcc_lo, v34, v1, vcc_lo
	global_load_b128 v[0:3], v[4:5], off
	v_fma_f64 v[6:7], v[8:9], v[22:23], v[6:7]
	v_fma_f64 v[18:19], v[10:11], v[22:23], v[18:19]
                                        ; implicit-def: $vgpr22_vgpr23
	s_waitcnt vmcnt(0)
	s_delay_alu instid0(VALU_DEP_2) | instskip(NEXT) | instid1(VALU_DEP_2)
	v_fma_f64 v[6:7], v[12:13], v[0:1], v[6:7]
	v_fma_f64 v[18:19], v[14:15], v[0:1], v[18:19]
	s_delay_alu instid0(VALU_DEP_2) | instskip(NEXT) | instid1(VALU_DEP_2)
	v_fma_f64 v[0:1], -v[14:15], v[2:3], v[6:7]
	v_fma_f64 v[2:3], v[12:13], v[2:3], v[18:19]
                                        ; implicit-def: $vgpr18
	global_store_b128 v[4:5], v[0:3], off
.LBB58_26:                              ;   in Loop: Header=BB58_11 Depth=1
	s_and_not1_saveexec_b32 s16, s16
	s_cbranch_execz .LBB58_10
; %bb.27:                               ;   in Loop: Header=BB58_11 Depth=1
	s_delay_alu instid0(VALU_DEP_4) | instskip(SKIP_3) | instid1(VALU_DEP_2)
	v_mul_f64 v[0:1], v[20:21], -v[10:11]
	v_mul_f64 v[2:3], v[8:9], v[20:21]
	s_and_b32 vcc_lo, exec_lo, s5
	s_mov_b32 s16, -1
	v_fma_f64 v[0:1], v[8:9], v[22:23], v[0:1]
	s_delay_alu instid0(VALU_DEP_2)
	v_fma_f64 v[2:3], v[10:11], v[22:23], v[2:3]
	s_cbranch_vccz .LBB58_29
; %bb.28:                               ;   in Loop: Header=BB58_11 Depth=1
	v_lshlrev_b64 v[4:5], 4, v[18:19]
	s_mov_b32 s16, 0
	s_delay_alu instid0(VALU_DEP_1) | instskip(NEXT) | instid1(VALU_DEP_2)
	v_add_co_u32 v4, vcc_lo, v36, v4
	v_add_co_ci_u32_e32 v5, vcc_lo, v37, v5, vcc_lo
	global_store_b128 v[4:5], v[0:3], off
.LBB58_29:                              ;   in Loop: Header=BB58_11 Depth=1
	s_and_not1_b32 vcc_lo, exec_lo, s16
	s_cbranch_vccnz .LBB58_10
; %bb.30:                               ;   in Loop: Header=BB58_11 Depth=1
	v_mul_lo_u32 v6, v19, s14
	v_mul_lo_u32 v7, v18, s15
	v_mad_u64_u32 v[4:5], null, v18, s14, 0
	s_delay_alu instid0(VALU_DEP_1) | instskip(NEXT) | instid1(VALU_DEP_1)
	v_add3_u32 v5, v5, v7, v6
	v_lshlrev_b64 v[4:5], 4, v[4:5]
	s_delay_alu instid0(VALU_DEP_1) | instskip(NEXT) | instid1(VALU_DEP_2)
	v_add_co_u32 v4, vcc_lo, v33, v4
	v_add_co_ci_u32_e32 v5, vcc_lo, v34, v5, vcc_lo
	global_store_b128 v[4:5], v[0:3], off
	s_branch .LBB58_10
.LBB58_31:
	s_endpgm
	.section	.rodata,"a",@progbits
	.p2align	6, 0x0
	.amdhsa_kernel _ZN9rocsparseL29bsrmmnt_small_blockdim_kernelILj64ELj16ELj2Eii21rocsparse_complex_numIdES2_S2_S2_EEv20rocsparse_direction_T3_S4_llNS_24const_host_device_scalarIT7_EEPKT2_PKS4_PKT4_PKT5_llS7_PT6_ll16rocsparse_order_21rocsparse_index_base_b
		.amdhsa_group_segment_fixed_size 3840
		.amdhsa_private_segment_fixed_size 16
		.amdhsa_kernarg_size 408
		.amdhsa_user_sgpr_count 15
		.amdhsa_user_sgpr_dispatch_ptr 1
		.amdhsa_user_sgpr_queue_ptr 0
		.amdhsa_user_sgpr_kernarg_segment_ptr 1
		.amdhsa_user_sgpr_dispatch_id 0
		.amdhsa_user_sgpr_private_segment_size 0
		.amdhsa_wavefront_size32 1
		.amdhsa_uses_dynamic_stack 0
		.amdhsa_enable_private_segment 1
		.amdhsa_system_sgpr_workgroup_id_x 1
		.amdhsa_system_sgpr_workgroup_id_y 0
		.amdhsa_system_sgpr_workgroup_id_z 0
		.amdhsa_system_sgpr_workgroup_info 0
		.amdhsa_system_vgpr_workitem_id 2
		.amdhsa_next_free_vgpr 63
		.amdhsa_next_free_sgpr 24
		.amdhsa_reserve_vcc 1
		.amdhsa_float_round_mode_32 0
		.amdhsa_float_round_mode_16_64 0
		.amdhsa_float_denorm_mode_32 3
		.amdhsa_float_denorm_mode_16_64 3
		.amdhsa_dx10_clamp 1
		.amdhsa_ieee_mode 1
		.amdhsa_fp16_overflow 0
		.amdhsa_workgroup_processor_mode 1
		.amdhsa_memory_ordered 1
		.amdhsa_forward_progress 0
		.amdhsa_shared_vgpr_count 0
		.amdhsa_exception_fp_ieee_invalid_op 0
		.amdhsa_exception_fp_denorm_src 0
		.amdhsa_exception_fp_ieee_div_zero 0
		.amdhsa_exception_fp_ieee_overflow 0
		.amdhsa_exception_fp_ieee_underflow 0
		.amdhsa_exception_fp_ieee_inexact 0
		.amdhsa_exception_int_div_zero 0
	.end_amdhsa_kernel
	.section	.text._ZN9rocsparseL29bsrmmnt_small_blockdim_kernelILj64ELj16ELj2Eii21rocsparse_complex_numIdES2_S2_S2_EEv20rocsparse_direction_T3_S4_llNS_24const_host_device_scalarIT7_EEPKT2_PKS4_PKT4_PKT5_llS7_PT6_ll16rocsparse_order_21rocsparse_index_base_b,"axG",@progbits,_ZN9rocsparseL29bsrmmnt_small_blockdim_kernelILj64ELj16ELj2Eii21rocsparse_complex_numIdES2_S2_S2_EEv20rocsparse_direction_T3_S4_llNS_24const_host_device_scalarIT7_EEPKT2_PKS4_PKT4_PKT5_llS7_PT6_ll16rocsparse_order_21rocsparse_index_base_b,comdat
.Lfunc_end58:
	.size	_ZN9rocsparseL29bsrmmnt_small_blockdim_kernelILj64ELj16ELj2Eii21rocsparse_complex_numIdES2_S2_S2_EEv20rocsparse_direction_T3_S4_llNS_24const_host_device_scalarIT7_EEPKT2_PKS4_PKT4_PKT5_llS7_PT6_ll16rocsparse_order_21rocsparse_index_base_b, .Lfunc_end58-_ZN9rocsparseL29bsrmmnt_small_blockdim_kernelILj64ELj16ELj2Eii21rocsparse_complex_numIdES2_S2_S2_EEv20rocsparse_direction_T3_S4_llNS_24const_host_device_scalarIT7_EEPKT2_PKS4_PKT4_PKT5_llS7_PT6_ll16rocsparse_order_21rocsparse_index_base_b
                                        ; -- End function
	.section	.AMDGPU.csdata,"",@progbits
; Kernel info:
; codeLenInByte = 2228
; NumSgprs: 26
; NumVgprs: 63
; ScratchSize: 16
; MemoryBound: 0
; FloatMode: 240
; IeeeMode: 1
; LDSByteSize: 3840 bytes/workgroup (compile time only)
; SGPRBlocks: 3
; VGPRBlocks: 7
; NumSGPRsForWavesPerEU: 26
; NumVGPRsForWavesPerEU: 63
; Occupancy: 16
; WaveLimiterHint : 0
; COMPUTE_PGM_RSRC2:SCRATCH_EN: 1
; COMPUTE_PGM_RSRC2:USER_SGPR: 15
; COMPUTE_PGM_RSRC2:TRAP_HANDLER: 0
; COMPUTE_PGM_RSRC2:TGID_X_EN: 1
; COMPUTE_PGM_RSRC2:TGID_Y_EN: 0
; COMPUTE_PGM_RSRC2:TGID_Z_EN: 0
; COMPUTE_PGM_RSRC2:TIDIG_COMP_CNT: 2
	.section	.text._ZN9rocsparseL29bsrmmnt_small_blockdim_kernelILj64ELj32ELj2Eii21rocsparse_complex_numIdES2_S2_S2_EEv20rocsparse_direction_T3_S4_llNS_24const_host_device_scalarIT7_EEPKT2_PKS4_PKT4_PKT5_llS7_PT6_ll16rocsparse_order_21rocsparse_index_base_b,"axG",@progbits,_ZN9rocsparseL29bsrmmnt_small_blockdim_kernelILj64ELj32ELj2Eii21rocsparse_complex_numIdES2_S2_S2_EEv20rocsparse_direction_T3_S4_llNS_24const_host_device_scalarIT7_EEPKT2_PKS4_PKT4_PKT5_llS7_PT6_ll16rocsparse_order_21rocsparse_index_base_b,comdat
	.globl	_ZN9rocsparseL29bsrmmnt_small_blockdim_kernelILj64ELj32ELj2Eii21rocsparse_complex_numIdES2_S2_S2_EEv20rocsparse_direction_T3_S4_llNS_24const_host_device_scalarIT7_EEPKT2_PKS4_PKT4_PKT5_llS7_PT6_ll16rocsparse_order_21rocsparse_index_base_b ; -- Begin function _ZN9rocsparseL29bsrmmnt_small_blockdim_kernelILj64ELj32ELj2Eii21rocsparse_complex_numIdES2_S2_S2_EEv20rocsparse_direction_T3_S4_llNS_24const_host_device_scalarIT7_EEPKT2_PKS4_PKT4_PKT5_llS7_PT6_ll16rocsparse_order_21rocsparse_index_base_b
	.p2align	8
	.type	_ZN9rocsparseL29bsrmmnt_small_blockdim_kernelILj64ELj32ELj2Eii21rocsparse_complex_numIdES2_S2_S2_EEv20rocsparse_direction_T3_S4_llNS_24const_host_device_scalarIT7_EEPKT2_PKS4_PKT4_PKT5_llS7_PT6_ll16rocsparse_order_21rocsparse_index_base_b,@function
_ZN9rocsparseL29bsrmmnt_small_blockdim_kernelILj64ELj32ELj2Eii21rocsparse_complex_numIdES2_S2_S2_EEv20rocsparse_direction_T3_S4_llNS_24const_host_device_scalarIT7_EEPKT2_PKS4_PKT4_PKT5_llS7_PT6_ll16rocsparse_order_21rocsparse_index_base_b: ; @_ZN9rocsparseL29bsrmmnt_small_blockdim_kernelILj64ELj32ELj2Eii21rocsparse_complex_numIdES2_S2_S2_EEv20rocsparse_direction_T3_S4_llNS_24const_host_device_scalarIT7_EEPKT2_PKS4_PKT4_PKT5_llS7_PT6_ll16rocsparse_order_21rocsparse_index_base_b
; %bb.0:
	s_load_b128 s[16:19], s[2:3], 0x88
	s_load_b64 s[12:13], s[0:1], 0x4
	s_load_b128 s[8:11], s[2:3], 0x20
	v_bfe_u32 v2, v0, 10, 10
	s_mov_b64 s[0:1], src_shared_base
	s_load_b128 s[4:7], s[2:3], 0x60
	v_and_b32_e32 v1, 0x3ff, v0
	v_bfe_u32 v0, v0, 20, 10
	s_waitcnt lgkmcnt(0)
	s_bitcmp1_b32 s18, 0
	v_mul_u32_u24_e32 v2, s13, v2
	s_cselect_b32 s0, -1, 0
	v_mov_b32_e32 v10, s10
	s_and_b32 vcc_lo, s0, exec_lo
	s_cselect_b32 s1, s1, s9
	s_lshr_b32 s12, s12, 16
	v_dual_mov_b32 v4, s4 :: v_dual_mov_b32 v5, s5
	s_mul_i32 s12, s12, s13
	v_mov_b32_e32 v7, s1
	v_mad_u32_u24 v2, s12, v1, v2
	v_mov_b32_e32 v11, s11
	scratch_store_b64 off, v[4:5], off
	s_xor_b32 s1, s0, -1
	v_add_lshl_u32 v0, v2, v0, 3
	v_dual_mov_b32 v2, s8 :: v_dual_mov_b32 v3, s9
	s_delay_alu instid0(VALU_DEP_2)
	v_add_nc_u32_e32 v6, 0xd00, v0
	ds_store_b64 v0, v[2:3] offset:3328
	v_cndmask_b32_e64 v6, s8, v6, s0
	flat_load_b64 v[8:9], v[6:7]
	s_cbranch_vccnz .LBB59_2
; %bb.1:
	v_dual_mov_b32 v2, s8 :: v_dual_mov_b32 v3, s9
	flat_load_b64 v[10:11], v[2:3] offset:8
.LBB59_2:
	s_mov_b64 s[8:9], src_private_base
	s_and_b32 s8, s0, exec_lo
	s_cselect_b32 s8, s9, s5
	s_delay_alu instid0(SALU_CYCLE_1) | instskip(SKIP_2) | instid1(VALU_DEP_2)
	v_dual_mov_b32 v0, 0 :: v_dual_mov_b32 v3, s8
	v_dual_mov_b32 v15, s7 :: v_dual_mov_b32 v14, s6
	s_and_not1_b32 vcc_lo, exec_lo, s1
	v_cndmask_b32_e64 v2, s4, v0, s0
	flat_load_b64 v[12:13], v[2:3]
	s_cbranch_vccnz .LBB59_4
; %bb.3:
	v_dual_mov_b32 v2, s4 :: v_dual_mov_b32 v3, s5
	flat_load_b64 v[14:15], v[2:3] offset:8
.LBB59_4:
	s_waitcnt vmcnt(1) lgkmcnt(1)
	v_cmp_eq_f64_e32 vcc_lo, 0, v[8:9]
	v_cmp_eq_f64_e64 s0, 0, v[10:11]
	s_delay_alu instid0(VALU_DEP_1)
	s_and_b32 s4, vcc_lo, s0
	s_mov_b32 s0, -1
	s_and_saveexec_b32 s1, s4
	s_cbranch_execz .LBB59_6
; %bb.5:
	s_waitcnt vmcnt(0) lgkmcnt(0)
	v_cmp_neq_f64_e32 vcc_lo, 1.0, v[12:13]
	v_cmp_neq_f64_e64 s0, 0, v[14:15]
	s_delay_alu instid0(VALU_DEP_1) | instskip(NEXT) | instid1(SALU_CYCLE_1)
	s_or_b32 s0, vcc_lo, s0
	s_or_not1_b32 s0, s0, exec_lo
.LBB59_6:
	s_or_b32 exec_lo, exec_lo, s1
	s_and_saveexec_b32 s1, s0
	s_cbranch_execz .LBB59_31
; %bb.7:
	s_clause 0x1
	s_load_b32 s0, s[2:3], 0xa4
	s_load_b128 s[20:23], s[2:3], 0x0
	s_waitcnt lgkmcnt(0)
	s_and_b32 s0, s0, 0xffff
	s_delay_alu instid0(SALU_CYCLE_1) | instskip(NEXT) | instid1(VALU_DEP_1)
	v_mad_u64_u32 v[2:3], null, s15, s0, v[1:2]
	v_lshrrev_b32_e32 v0, 6, v2
	s_delay_alu instid0(VALU_DEP_1)
	v_cmp_gt_i32_e32 vcc_lo, s21, v0
	s_and_b32 exec_lo, exec_lo, vcc_lo
	s_cbranch_execz .LBB59_31
; %bb.8:
	s_cmp_lt_i32 s22, 1
	s_cbranch_scc1 .LBB59_31
; %bb.9:
	s_load_b256 s[4:11], s[2:3], 0x30
	v_lshlrev_b32_e32 v0, 2, v0
	s_load_b128 s[12:15], s[2:3], 0x70
	s_waitcnt vmcnt(0)
	v_cmp_neq_f64_e32 vcc_lo, 0, v[12:13]
	v_cmp_neq_f64_e64 s0, 0, v[14:15]
	v_lshrrev_b32_e32 v7, 5, v2
	v_bfe_u32 v17, v2, 5, 1
	v_and_b32_e32 v28, 31, v1
	v_lshrrev_b32_e32 v16, 5, v1
	s_load_b64 s[2:3], s[2:3], 0x50
	s_delay_alu instid0(VALU_DEP_1) | instskip(SKIP_1) | instid1(VALU_DEP_2)
	v_lshl_or_b32 v29, v16, 7, 0xc00
	v_mul_u32_u24_e32 v30, 0x600, v16
	v_lshl_or_b32 v31, v28, 2, v29
	s_waitcnt lgkmcnt(0)
	global_load_b64 v[3:4], v0, s[4:5]
	v_mad_u64_u32 v[5:6], null, v7, s14, 0
	s_delay_alu instid0(VALU_DEP_1) | instskip(SKIP_1) | instid1(VALU_DEP_2)
	v_mov_b32_e32 v0, v6
	v_mul_u32_u24_e32 v6, 3, v28
	v_mad_u64_u32 v[1:2], null, v7, s15, v[0:1]
	s_delay_alu instid0(VALU_DEP_2) | instskip(SKIP_2) | instid1(VALU_DEP_3)
	v_lshlrev_b32_e32 v0, 4, v6
	v_lshlrev_b32_e32 v2, 4, v7
	s_or_b32 s4, vcc_lo, s0
	v_mov_b32_e32 v6, v1
	s_cmp_lg_u32 s16, 1
	v_mad_u32_u24 v32, 0x600, v16, v0
	s_cselect_b32 s5, -1, 0
	s_cmp_eq_u32 s20, 0
	v_lshlrev_b64 v[0:1], 4, v[5:6]
	s_cselect_b32 s1, -1, 0
	v_add_co_u32 v33, s0, s12, v2
	v_cndmask_b32_e64 v7, 0, 1, s1
	v_add_co_ci_u32_e64 v34, null, s13, 0, s0
	s_delay_alu instid0(VALU_DEP_4) | instskip(NEXT) | instid1(VALU_DEP_3)
	v_add_co_u32 v36, vcc_lo, s12, v0
	v_lshlrev_b32_e32 v35, v7, v17
	v_add_co_ci_u32_e32 v37, vcc_lo, s13, v1, vcc_lo
	v_mov_b32_e32 v17, 0
	s_and_b32 s1, s1, exec_lo
	s_mov_b32 s12, 0
	s_cselect_b32 s13, 1, 2
	s_waitcnt vmcnt(0)
	v_subrev_nc_u32_e32 v38, s17, v3
	v_subrev_nc_u32_e32 v39, s17, v4
	v_cmp_lt_i32_e64 s0, v3, v4
	s_branch .LBB59_11
.LBB59_10:                              ;   in Loop: Header=BB59_11 Depth=1
	s_or_b32 exec_lo, exec_lo, s1
	s_add_i32 s12, s12, 32
	s_delay_alu instid0(SALU_CYCLE_1)
	s_cmp_lt_i32 s12, s22
	s_cbranch_scc0 .LBB59_31
.LBB59_11:                              ; =>This Loop Header: Depth=1
                                        ;     Child Loop BB59_14 Depth 2
                                        ;       Child Loop BB59_18 Depth 3
	v_mov_b32_e32 v20, 0
	v_or_b32_e32 v18, s12, v28
	v_mov_b32_e32 v21, 0
	s_delay_alu instid0(VALU_DEP_2) | instskip(NEXT) | instid1(VALU_DEP_2)
	v_ashrrev_i32_e32 v19, 31, v18
	v_dual_mov_b32 v23, v21 :: v_dual_mov_b32 v22, v20
	s_and_saveexec_b32 s16, s0
	s_cbranch_execz .LBB59_20
; %bb.12:                               ;   in Loop: Header=BB59_11 Depth=1
	s_delay_alu instid0(VALU_DEP_2) | instskip(SKIP_3) | instid1(VALU_DEP_3)
	v_lshlrev_b64 v[0:1], 4, v[18:19]
	v_mov_b32_e32 v24, 0
	v_dual_mov_b32 v25, 0 :: v_dual_mov_b32 v42, v38
	v_cmp_gt_i32_e32 vcc_lo, s22, v18
	v_mov_b32_e32 v20, v24
	v_add_co_u32 v40, s1, s10, v0
	s_delay_alu instid0(VALU_DEP_4)
	v_mov_b32_e32 v21, v25
	v_add_co_ci_u32_e64 v41, s1, s11, v1, s1
	v_dual_mov_b32 v22, v24 :: v_dual_mov_b32 v23, v25
	s_mov_b32 s18, 0
	s_branch .LBB59_14
.LBB59_13:                              ;   in Loop: Header=BB59_14 Depth=2
	s_or_b32 exec_lo, exec_lo, s19
	v_add_nc_u32_e32 v42, 32, v42
	s_delay_alu instid0(VALU_DEP_1) | instskip(NEXT) | instid1(VALU_DEP_1)
	v_cmp_ge_i32_e64 s1, v42, v39
	s_or_b32 s18, s1, s18
	s_delay_alu instid0(SALU_CYCLE_1)
	s_and_not1_b32 exec_lo, exec_lo, s18
	s_cbranch_execz .LBB59_19
.LBB59_14:                              ;   Parent Loop BB59_11 Depth=1
                                        ; =>  This Loop Header: Depth=2
                                        ;       Child Loop BB59_18 Depth 3
	v_mov_b32_e32 v4, v24
	v_mov_b32_e32 v6, v24
	v_mov_b32_e32 v0, v24
	v_dual_mov_b32 v2, v24 :: v_dual_mov_b32 v3, v25
	v_dual_mov_b32 v5, v25 :: v_dual_add_nc_u32 v26, v42, v28
	v_dual_mov_b32 v16, 0 :: v_dual_mov_b32 v7, v25
	v_mov_b32_e32 v1, v25
	s_mov_b32 s19, exec_lo
	s_delay_alu instid0(VALU_DEP_3)
	v_cmpx_lt_i32_e64 v26, v39
	s_cbranch_execz .LBB59_16
; %bb.15:                               ;   in Loop: Header=BB59_14 Depth=2
	v_ashrrev_i32_e32 v27, 31, v26
	v_lshl_or_b32 v16, v26, 2, v35
	s_delay_alu instid0(VALU_DEP_2) | instskip(NEXT) | instid1(VALU_DEP_2)
	v_lshlrev_b64 v[0:1], 2, v[26:27]
	v_lshlrev_b64 v[2:3], 4, v[16:17]
	v_or_b32_e32 v16, s13, v16
	s_delay_alu instid0(VALU_DEP_3) | instskip(NEXT) | instid1(VALU_DEP_1)
	v_add_co_u32 v0, s1, s6, v0
	v_add_co_ci_u32_e64 v1, s1, s7, v1, s1
	s_delay_alu instid0(VALU_DEP_3) | instskip(SKIP_2) | instid1(VALU_DEP_1)
	v_lshlrev_b64 v[4:5], 4, v[16:17]
	global_load_b32 v16, v[0:1], off
	v_add_co_u32 v0, s1, s8, v2
	v_add_co_ci_u32_e64 v1, s1, s9, v3, s1
	v_add_co_u32 v2, s1, s8, v4
	s_delay_alu instid0(VALU_DEP_1)
	v_add_co_ci_u32_e64 v3, s1, s9, v5, s1
	s_clause 0x1
	global_load_b128 v[4:7], v[0:1], off
	global_load_b128 v[0:3], v[2:3], off
	s_waitcnt vmcnt(2)
	v_subrev_nc_u32_e32 v16, s17, v16
	s_delay_alu instid0(VALU_DEP_1)
	v_lshlrev_b32_e32 v16, 1, v16
.LBB59_16:                              ;   in Loop: Header=BB59_14 Depth=2
	s_or_b32 exec_lo, exec_lo, s19
	ds_store_b32 v31, v16
	s_waitcnt vmcnt(1)
	ds_store_b128 v32, v[4:7]
	s_waitcnt vmcnt(0)
	ds_store_b128 v32, v[0:3] offset:16
	s_waitcnt lgkmcnt(0)
	s_waitcnt_vscnt null, 0x0
	s_barrier
	buffer_gl0_inv
	s_and_saveexec_b32 s19, vcc_lo
	s_cbranch_execz .LBB59_13
; %bb.17:                               ;   in Loop: Header=BB59_14 Depth=2
	v_mov_b32_e32 v0, v30
	s_mov_b32 s20, 0
.LBB59_18:                              ;   Parent Loop BB59_11 Depth=1
                                        ;     Parent Loop BB59_14 Depth=2
                                        ; =>    This Inner Loop Header: Depth=3
	s_delay_alu instid0(SALU_CYCLE_1) | instskip(SKIP_1) | instid1(SALU_CYCLE_1)
	v_add_nc_u32_e32 v1, s20, v29
	s_add_i32 s20, s20, 8
	s_cmpk_lg_i32 s20, 0x80
	ds_load_b64 v[5:6], v1
	s_waitcnt lgkmcnt(0)
	v_ashrrev_i32_e32 v3, 31, v5
	v_mul_lo_u32 v4, v5, s3
	v_mad_u64_u32 v[1:2], null, v5, s2, 0
	v_add_nc_u32_e32 v5, 1, v5
	s_delay_alu instid0(VALU_DEP_4) | instskip(NEXT) | instid1(VALU_DEP_2)
	v_mul_lo_u32 v3, v3, s2
	v_ashrrev_i32_e32 v7, 31, v5
	v_mul_lo_u32 v16, v5, s3
	v_mad_u64_u32 v[26:27], null, v5, s2, 0
	s_delay_alu instid0(VALU_DEP_4) | instskip(NEXT) | instid1(VALU_DEP_4)
	v_add3_u32 v2, v2, v4, v3
	v_mul_lo_u32 v5, v7, s2
	v_mul_lo_u32 v7, v6, s3
	s_delay_alu instid0(VALU_DEP_3) | instskip(NEXT) | instid1(VALU_DEP_3)
	v_lshlrev_b64 v[1:2], 4, v[1:2]
	v_add3_u32 v27, v27, v16, v5
	v_ashrrev_i32_e32 v5, 31, v6
	s_delay_alu instid0(VALU_DEP_3) | instskip(NEXT) | instid1(VALU_DEP_1)
	v_add_co_u32 v1, s1, v40, v1
	v_add_co_ci_u32_e64 v2, s1, v41, v2, s1
	s_delay_alu instid0(VALU_DEP_4) | instskip(NEXT) | instid1(VALU_DEP_4)
	v_lshlrev_b64 v[26:27], 4, v[26:27]
	v_mul_lo_u32 v5, v5, s2
	global_load_b128 v[1:4], v[1:2], off
	v_add_co_u32 v26, s1, v40, v26
	s_delay_alu instid0(VALU_DEP_1) | instskip(SKIP_2) | instid1(VALU_DEP_1)
	v_add_co_ci_u32_e64 v27, s1, v41, v27, s1
	global_load_b128 v[43:46], v[26:27], off
	v_mad_u64_u32 v[26:27], null, v6, s2, 0
	v_add3_u32 v27, v27, v7, v5
	v_add_nc_u32_e32 v7, 1, v6
	s_delay_alu instid0(VALU_DEP_2) | instskip(NEXT) | instid1(VALU_DEP_2)
	v_lshlrev_b64 v[26:27], 4, v[26:27]
	v_ashrrev_i32_e32 v16, 31, v7
	v_mad_u64_u32 v[5:6], null, v7, s2, 0
	s_delay_alu instid0(VALU_DEP_3) | instskip(NEXT) | instid1(VALU_DEP_1)
	v_add_co_u32 v26, s1, v40, v26
	v_add_co_ci_u32_e64 v27, s1, v41, v27, s1
	global_load_b128 v[47:50], v[26:27], off
	v_mul_lo_u32 v26, v7, s3
	v_mul_lo_u32 v7, v16, s2
	s_delay_alu instid0(VALU_DEP_1) | instskip(NEXT) | instid1(VALU_DEP_1)
	v_add3_u32 v6, v6, v26, v7
	v_lshlrev_b64 v[5:6], 4, v[5:6]
	s_delay_alu instid0(VALU_DEP_1) | instskip(NEXT) | instid1(VALU_DEP_1)
	v_add_co_u32 v5, s1, v40, v5
	v_add_co_ci_u32_e64 v6, s1, v41, v6, s1
	global_load_b128 v[51:54], v[5:6], off
	ds_load_b128 v[55:58], v0
	ds_load_b128 v[59:62], v0 offset:16
	s_waitcnt vmcnt(3) lgkmcnt(1)
	v_fma_f64 v[5:6], v[55:56], v[1:2], v[22:23]
	v_fma_f64 v[1:2], v[57:58], v[1:2], v[20:21]
	s_delay_alu instid0(VALU_DEP_2) | instskip(NEXT) | instid1(VALU_DEP_2)
	v_fma_f64 v[5:6], -v[57:58], v[3:4], v[5:6]
	v_fma_f64 v[1:2], v[55:56], v[3:4], v[1:2]
	s_waitcnt vmcnt(2) lgkmcnt(0)
	s_delay_alu instid0(VALU_DEP_2) | instskip(NEXT) | instid1(VALU_DEP_2)
	v_fma_f64 v[3:4], v[59:60], v[43:44], v[5:6]
	v_fma_f64 v[1:2], v[61:62], v[43:44], v[1:2]
	s_delay_alu instid0(VALU_DEP_2) | instskip(NEXT) | instid1(VALU_DEP_2)
	v_fma_f64 v[5:6], -v[61:62], v[45:46], v[3:4]
	v_fma_f64 v[26:27], v[59:60], v[45:46], v[1:2]
	ds_load_b128 v[1:4], v0 offset:48
	ds_load_b128 v[20:23], v0 offset:64
	v_add_nc_u32_e32 v0, 0x60, v0
	s_waitcnt vmcnt(1) lgkmcnt(1)
	v_fma_f64 v[5:6], v[1:2], v[47:48], v[5:6]
	v_fma_f64 v[26:27], v[3:4], v[47:48], v[26:27]
	s_delay_alu instid0(VALU_DEP_2) | instskip(NEXT) | instid1(VALU_DEP_2)
	v_fma_f64 v[3:4], -v[3:4], v[49:50], v[5:6]
	v_fma_f64 v[1:2], v[1:2], v[49:50], v[26:27]
	s_waitcnt vmcnt(0) lgkmcnt(0)
	s_delay_alu instid0(VALU_DEP_2) | instskip(NEXT) | instid1(VALU_DEP_2)
	v_fma_f64 v[3:4], v[20:21], v[51:52], v[3:4]
	v_fma_f64 v[1:2], v[22:23], v[51:52], v[1:2]
	s_delay_alu instid0(VALU_DEP_2) | instskip(NEXT) | instid1(VALU_DEP_2)
	v_fma_f64 v[22:23], -v[22:23], v[53:54], v[3:4]
	v_fma_f64 v[20:21], v[20:21], v[53:54], v[1:2]
	s_cbranch_scc1 .LBB59_18
	s_branch .LBB59_13
.LBB59_19:                              ;   in Loop: Header=BB59_11 Depth=1
	s_or_b32 exec_lo, exec_lo, s18
.LBB59_20:                              ;   in Loop: Header=BB59_11 Depth=1
	s_delay_alu instid0(SALU_CYCLE_1) | instskip(NEXT) | instid1(SALU_CYCLE_1)
	s_or_b32 exec_lo, exec_lo, s16
	s_mov_b32 s1, exec_lo
	v_cmpx_gt_i32_e64 s22, v18
	s_cbranch_execz .LBB59_10
; %bb.21:                               ;   in Loop: Header=BB59_11 Depth=1
	s_and_saveexec_b32 s16, s4
	s_delay_alu instid0(SALU_CYCLE_1)
	s_xor_b32 s16, exec_lo, s16
	s_cbranch_execz .LBB59_26
; %bb.22:                               ;   in Loop: Header=BB59_11 Depth=1
	s_and_b32 vcc_lo, exec_lo, s5
	s_mov_b32 s18, -1
	s_cbranch_vccz .LBB59_24
; %bb.23:                               ;   in Loop: Header=BB59_11 Depth=1
	v_lshlrev_b64 v[0:1], 4, v[18:19]
	v_mul_f64 v[6:7], v[20:21], -v[10:11]
	v_mul_f64 v[24:25], v[8:9], v[20:21]
	s_mov_b32 s18, 0
	s_delay_alu instid0(VALU_DEP_3) | instskip(NEXT) | instid1(VALU_DEP_4)
	v_add_co_u32 v4, vcc_lo, v36, v0
	v_add_co_ci_u32_e32 v5, vcc_lo, v37, v1, vcc_lo
	global_load_b128 v[0:3], v[4:5], off
	v_fma_f64 v[6:7], v[8:9], v[22:23], v[6:7]
	v_fma_f64 v[24:25], v[10:11], v[22:23], v[24:25]
	s_waitcnt vmcnt(0)
	s_delay_alu instid0(VALU_DEP_2) | instskip(NEXT) | instid1(VALU_DEP_2)
	v_fma_f64 v[6:7], v[12:13], v[0:1], v[6:7]
	v_fma_f64 v[24:25], v[14:15], v[0:1], v[24:25]
	s_delay_alu instid0(VALU_DEP_2) | instskip(NEXT) | instid1(VALU_DEP_2)
	v_fma_f64 v[0:1], -v[14:15], v[2:3], v[6:7]
	v_fma_f64 v[2:3], v[12:13], v[2:3], v[24:25]
	global_store_b128 v[4:5], v[0:3], off
.LBB59_24:                              ;   in Loop: Header=BB59_11 Depth=1
	s_and_not1_b32 vcc_lo, exec_lo, s18
	s_cbranch_vccnz .LBB59_26
; %bb.25:                               ;   in Loop: Header=BB59_11 Depth=1
	v_mul_lo_u32 v2, v19, s14
	v_mul_lo_u32 v3, v18, s15
	v_mad_u64_u32 v[0:1], null, v18, s14, 0
	v_mul_f64 v[6:7], v[20:21], -v[10:11]
	v_mul_f64 v[18:19], v[8:9], v[20:21]
                                        ; implicit-def: $vgpr20_vgpr21
	s_delay_alu instid0(VALU_DEP_3) | instskip(NEXT) | instid1(VALU_DEP_1)
	v_add3_u32 v1, v1, v3, v2
	v_lshlrev_b64 v[0:1], 4, v[0:1]
	s_delay_alu instid0(VALU_DEP_1) | instskip(NEXT) | instid1(VALU_DEP_2)
	v_add_co_u32 v4, vcc_lo, v33, v0
	v_add_co_ci_u32_e32 v5, vcc_lo, v34, v1, vcc_lo
	global_load_b128 v[0:3], v[4:5], off
	v_fma_f64 v[6:7], v[8:9], v[22:23], v[6:7]
	v_fma_f64 v[18:19], v[10:11], v[22:23], v[18:19]
                                        ; implicit-def: $vgpr22_vgpr23
	s_waitcnt vmcnt(0)
	s_delay_alu instid0(VALU_DEP_2) | instskip(NEXT) | instid1(VALU_DEP_2)
	v_fma_f64 v[6:7], v[12:13], v[0:1], v[6:7]
	v_fma_f64 v[18:19], v[14:15], v[0:1], v[18:19]
	s_delay_alu instid0(VALU_DEP_2) | instskip(NEXT) | instid1(VALU_DEP_2)
	v_fma_f64 v[0:1], -v[14:15], v[2:3], v[6:7]
	v_fma_f64 v[2:3], v[12:13], v[2:3], v[18:19]
                                        ; implicit-def: $vgpr18
	global_store_b128 v[4:5], v[0:3], off
.LBB59_26:                              ;   in Loop: Header=BB59_11 Depth=1
	s_and_not1_saveexec_b32 s16, s16
	s_cbranch_execz .LBB59_10
; %bb.27:                               ;   in Loop: Header=BB59_11 Depth=1
	s_delay_alu instid0(VALU_DEP_4) | instskip(SKIP_3) | instid1(VALU_DEP_2)
	v_mul_f64 v[0:1], v[20:21], -v[10:11]
	v_mul_f64 v[2:3], v[8:9], v[20:21]
	s_and_b32 vcc_lo, exec_lo, s5
	s_mov_b32 s16, -1
	v_fma_f64 v[0:1], v[8:9], v[22:23], v[0:1]
	s_delay_alu instid0(VALU_DEP_2)
	v_fma_f64 v[2:3], v[10:11], v[22:23], v[2:3]
	s_cbranch_vccz .LBB59_29
; %bb.28:                               ;   in Loop: Header=BB59_11 Depth=1
	v_lshlrev_b64 v[4:5], 4, v[18:19]
	s_mov_b32 s16, 0
	s_delay_alu instid0(VALU_DEP_1) | instskip(NEXT) | instid1(VALU_DEP_2)
	v_add_co_u32 v4, vcc_lo, v36, v4
	v_add_co_ci_u32_e32 v5, vcc_lo, v37, v5, vcc_lo
	global_store_b128 v[4:5], v[0:3], off
.LBB59_29:                              ;   in Loop: Header=BB59_11 Depth=1
	s_and_not1_b32 vcc_lo, exec_lo, s16
	s_cbranch_vccnz .LBB59_10
; %bb.30:                               ;   in Loop: Header=BB59_11 Depth=1
	v_mul_lo_u32 v6, v19, s14
	v_mul_lo_u32 v7, v18, s15
	v_mad_u64_u32 v[4:5], null, v18, s14, 0
	s_delay_alu instid0(VALU_DEP_1) | instskip(NEXT) | instid1(VALU_DEP_1)
	v_add3_u32 v5, v5, v7, v6
	v_lshlrev_b64 v[4:5], 4, v[4:5]
	s_delay_alu instid0(VALU_DEP_1) | instskip(NEXT) | instid1(VALU_DEP_2)
	v_add_co_u32 v4, vcc_lo, v33, v4
	v_add_co_ci_u32_e32 v5, vcc_lo, v34, v5, vcc_lo
	global_store_b128 v[4:5], v[0:3], off
	s_branch .LBB59_10
.LBB59_31:
	s_endpgm
	.section	.rodata,"a",@progbits
	.p2align	6, 0x0
	.amdhsa_kernel _ZN9rocsparseL29bsrmmnt_small_blockdim_kernelILj64ELj32ELj2Eii21rocsparse_complex_numIdES2_S2_S2_EEv20rocsparse_direction_T3_S4_llNS_24const_host_device_scalarIT7_EEPKT2_PKS4_PKT4_PKT5_llS7_PT6_ll16rocsparse_order_21rocsparse_index_base_b
		.amdhsa_group_segment_fixed_size 3840
		.amdhsa_private_segment_fixed_size 16
		.amdhsa_kernarg_size 408
		.amdhsa_user_sgpr_count 15
		.amdhsa_user_sgpr_dispatch_ptr 1
		.amdhsa_user_sgpr_queue_ptr 0
		.amdhsa_user_sgpr_kernarg_segment_ptr 1
		.amdhsa_user_sgpr_dispatch_id 0
		.amdhsa_user_sgpr_private_segment_size 0
		.amdhsa_wavefront_size32 1
		.amdhsa_uses_dynamic_stack 0
		.amdhsa_enable_private_segment 1
		.amdhsa_system_sgpr_workgroup_id_x 1
		.amdhsa_system_sgpr_workgroup_id_y 0
		.amdhsa_system_sgpr_workgroup_id_z 0
		.amdhsa_system_sgpr_workgroup_info 0
		.amdhsa_system_vgpr_workitem_id 2
		.amdhsa_next_free_vgpr 63
		.amdhsa_next_free_sgpr 24
		.amdhsa_reserve_vcc 1
		.amdhsa_float_round_mode_32 0
		.amdhsa_float_round_mode_16_64 0
		.amdhsa_float_denorm_mode_32 3
		.amdhsa_float_denorm_mode_16_64 3
		.amdhsa_dx10_clamp 1
		.amdhsa_ieee_mode 1
		.amdhsa_fp16_overflow 0
		.amdhsa_workgroup_processor_mode 1
		.amdhsa_memory_ordered 1
		.amdhsa_forward_progress 0
		.amdhsa_shared_vgpr_count 0
		.amdhsa_exception_fp_ieee_invalid_op 0
		.amdhsa_exception_fp_denorm_src 0
		.amdhsa_exception_fp_ieee_div_zero 0
		.amdhsa_exception_fp_ieee_overflow 0
		.amdhsa_exception_fp_ieee_underflow 0
		.amdhsa_exception_fp_ieee_inexact 0
		.amdhsa_exception_int_div_zero 0
	.end_amdhsa_kernel
	.section	.text._ZN9rocsparseL29bsrmmnt_small_blockdim_kernelILj64ELj32ELj2Eii21rocsparse_complex_numIdES2_S2_S2_EEv20rocsparse_direction_T3_S4_llNS_24const_host_device_scalarIT7_EEPKT2_PKS4_PKT4_PKT5_llS7_PT6_ll16rocsparse_order_21rocsparse_index_base_b,"axG",@progbits,_ZN9rocsparseL29bsrmmnt_small_blockdim_kernelILj64ELj32ELj2Eii21rocsparse_complex_numIdES2_S2_S2_EEv20rocsparse_direction_T3_S4_llNS_24const_host_device_scalarIT7_EEPKT2_PKS4_PKT4_PKT5_llS7_PT6_ll16rocsparse_order_21rocsparse_index_base_b,comdat
.Lfunc_end59:
	.size	_ZN9rocsparseL29bsrmmnt_small_blockdim_kernelILj64ELj32ELj2Eii21rocsparse_complex_numIdES2_S2_S2_EEv20rocsparse_direction_T3_S4_llNS_24const_host_device_scalarIT7_EEPKT2_PKS4_PKT4_PKT5_llS7_PT6_ll16rocsparse_order_21rocsparse_index_base_b, .Lfunc_end59-_ZN9rocsparseL29bsrmmnt_small_blockdim_kernelILj64ELj32ELj2Eii21rocsparse_complex_numIdES2_S2_S2_EEv20rocsparse_direction_T3_S4_llNS_24const_host_device_scalarIT7_EEPKT2_PKS4_PKT4_PKT5_llS7_PT6_ll16rocsparse_order_21rocsparse_index_base_b
                                        ; -- End function
	.section	.AMDGPU.csdata,"",@progbits
; Kernel info:
; codeLenInByte = 2224
; NumSgprs: 26
; NumVgprs: 63
; ScratchSize: 16
; MemoryBound: 0
; FloatMode: 240
; IeeeMode: 1
; LDSByteSize: 3840 bytes/workgroup (compile time only)
; SGPRBlocks: 3
; VGPRBlocks: 7
; NumSGPRsForWavesPerEU: 26
; NumVGPRsForWavesPerEU: 63
; Occupancy: 16
; WaveLimiterHint : 0
; COMPUTE_PGM_RSRC2:SCRATCH_EN: 1
; COMPUTE_PGM_RSRC2:USER_SGPR: 15
; COMPUTE_PGM_RSRC2:TRAP_HANDLER: 0
; COMPUTE_PGM_RSRC2:TGID_X_EN: 1
; COMPUTE_PGM_RSRC2:TGID_Y_EN: 0
; COMPUTE_PGM_RSRC2:TGID_Z_EN: 0
; COMPUTE_PGM_RSRC2:TIDIG_COMP_CNT: 2
	.section	.text._ZN9rocsparseL29bsrmmnt_small_blockdim_kernelILj64ELj64ELj2Eii21rocsparse_complex_numIdES2_S2_S2_EEv20rocsparse_direction_T3_S4_llNS_24const_host_device_scalarIT7_EEPKT2_PKS4_PKT4_PKT5_llS7_PT6_ll16rocsparse_order_21rocsparse_index_base_b,"axG",@progbits,_ZN9rocsparseL29bsrmmnt_small_blockdim_kernelILj64ELj64ELj2Eii21rocsparse_complex_numIdES2_S2_S2_EEv20rocsparse_direction_T3_S4_llNS_24const_host_device_scalarIT7_EEPKT2_PKS4_PKT4_PKT5_llS7_PT6_ll16rocsparse_order_21rocsparse_index_base_b,comdat
	.globl	_ZN9rocsparseL29bsrmmnt_small_blockdim_kernelILj64ELj64ELj2Eii21rocsparse_complex_numIdES2_S2_S2_EEv20rocsparse_direction_T3_S4_llNS_24const_host_device_scalarIT7_EEPKT2_PKS4_PKT4_PKT5_llS7_PT6_ll16rocsparse_order_21rocsparse_index_base_b ; -- Begin function _ZN9rocsparseL29bsrmmnt_small_blockdim_kernelILj64ELj64ELj2Eii21rocsparse_complex_numIdES2_S2_S2_EEv20rocsparse_direction_T3_S4_llNS_24const_host_device_scalarIT7_EEPKT2_PKS4_PKT4_PKT5_llS7_PT6_ll16rocsparse_order_21rocsparse_index_base_b
	.p2align	8
	.type	_ZN9rocsparseL29bsrmmnt_small_blockdim_kernelILj64ELj64ELj2Eii21rocsparse_complex_numIdES2_S2_S2_EEv20rocsparse_direction_T3_S4_llNS_24const_host_device_scalarIT7_EEPKT2_PKS4_PKT4_PKT5_llS7_PT6_ll16rocsparse_order_21rocsparse_index_base_b,@function
_ZN9rocsparseL29bsrmmnt_small_blockdim_kernelILj64ELj64ELj2Eii21rocsparse_complex_numIdES2_S2_S2_EEv20rocsparse_direction_T3_S4_llNS_24const_host_device_scalarIT7_EEPKT2_PKS4_PKT4_PKT5_llS7_PT6_ll16rocsparse_order_21rocsparse_index_base_b: ; @_ZN9rocsparseL29bsrmmnt_small_blockdim_kernelILj64ELj64ELj2Eii21rocsparse_complex_numIdES2_S2_S2_EEv20rocsparse_direction_T3_S4_llNS_24const_host_device_scalarIT7_EEPKT2_PKS4_PKT4_PKT5_llS7_PT6_ll16rocsparse_order_21rocsparse_index_base_b
; %bb.0:
	s_load_b128 s[16:19], s[2:3], 0x88
	s_load_b64 s[12:13], s[0:1], 0x4
	s_load_b128 s[8:11], s[2:3], 0x20
	v_bfe_u32 v1, v0, 10, 10
	s_mov_b64 s[0:1], src_shared_base
	s_load_b128 s[4:7], s[2:3], 0x60
	v_and_b32_e32 v8, 0x3ff, v0
	v_bfe_u32 v0, v0, 20, 10
	s_waitcnt lgkmcnt(0)
	s_bitcmp1_b32 s18, 0
	v_mul_u32_u24_e32 v1, s13, v1
	s_cselect_b32 s0, -1, 0
	v_mov_b32_e32 v12, s11
	s_and_b32 vcc_lo, s0, exec_lo
	s_cselect_b32 s1, s1, s9
	s_lshr_b32 s12, s12, 16
	v_dual_mov_b32 v2, s4 :: v_dual_mov_b32 v11, s10
	s_mul_i32 s12, s12, s13
	v_mov_b32_e32 v5, s1
	v_mad_u32_u24 v1, s12, v8, v1
	s_xor_b32 s1, s0, -1
	v_mov_b32_e32 v3, s5
	s_delay_alu instid0(VALU_DEP_2)
	v_add_lshl_u32 v6, v1, v0, 3
	v_dual_mov_b32 v0, s8 :: v_dual_mov_b32 v1, s9
	scratch_store_b64 off, v[2:3], off
	v_add_nc_u32_e32 v4, 0xd00, v6
	ds_store_b64 v6, v[0:1] offset:3328
	v_cndmask_b32_e64 v4, s8, v4, s0
	flat_load_b64 v[9:10], v[4:5]
	s_cbranch_vccnz .LBB60_2
; %bb.1:
	v_dual_mov_b32 v0, s8 :: v_dual_mov_b32 v1, s9
	flat_load_b64 v[11:12], v[0:1] offset:8
.LBB60_2:
	s_mov_b64 s[8:9], src_private_base
	s_and_b32 s8, s0, exec_lo
	s_cselect_b32 s8, s9, s5
	s_delay_alu instid0(SALU_CYCLE_1) | instskip(SKIP_2) | instid1(VALU_DEP_2)
	v_dual_mov_b32 v0, 0 :: v_dual_mov_b32 v1, s8
	v_dual_mov_b32 v16, s7 :: v_dual_mov_b32 v15, s6
	s_and_not1_b32 vcc_lo, exec_lo, s1
	v_cndmask_b32_e64 v0, s4, v0, s0
	flat_load_b64 v[13:14], v[0:1]
	s_cbranch_vccnz .LBB60_4
; %bb.3:
	v_dual_mov_b32 v0, s4 :: v_dual_mov_b32 v1, s5
	flat_load_b64 v[15:16], v[0:1] offset:8
.LBB60_4:
	s_waitcnt vmcnt(1) lgkmcnt(1)
	v_cmp_eq_f64_e32 vcc_lo, 0, v[9:10]
	v_cmp_eq_f64_e64 s0, 0, v[11:12]
	s_delay_alu instid0(VALU_DEP_1)
	s_and_b32 s4, vcc_lo, s0
	s_mov_b32 s0, -1
	s_and_saveexec_b32 s1, s4
	s_cbranch_execz .LBB60_6
; %bb.5:
	s_waitcnt vmcnt(0) lgkmcnt(0)
	v_cmp_neq_f64_e32 vcc_lo, 1.0, v[13:14]
	v_cmp_neq_f64_e64 s0, 0, v[15:16]
	s_delay_alu instid0(VALU_DEP_1) | instskip(NEXT) | instid1(SALU_CYCLE_1)
	s_or_b32 s0, vcc_lo, s0
	s_or_not1_b32 s0, s0, exec_lo
.LBB60_6:
	s_or_b32 exec_lo, exec_lo, s1
	s_and_saveexec_b32 s1, s0
	s_cbranch_execz .LBB60_31
; %bb.7:
	s_clause 0x1
	s_load_b32 s0, s[2:3], 0xa4
	s_load_b128 s[20:23], s[2:3], 0x0
	s_waitcnt lgkmcnt(0)
	s_and_b32 s0, s0, 0xffff
	s_delay_alu instid0(SALU_CYCLE_1) | instskip(NEXT) | instid1(VALU_DEP_1)
	v_mad_u64_u32 v[0:1], null, s15, s0, v[8:9]
	v_lshrrev_b32_e32 v1, 7, v0
	s_delay_alu instid0(VALU_DEP_1)
	v_cmp_gt_i32_e32 vcc_lo, s21, v1
	s_and_b32 exec_lo, exec_lo, vcc_lo
	s_cbranch_execz .LBB60_31
; %bb.8:
	s_cmp_lt_i32 s22, 1
	s_cbranch_scc1 .LBB60_31
; %bb.9:
	s_load_b128 s[12:15], s[2:3], 0x70
	v_lshrrev_b32_e32 v7, 6, v0
	s_load_b256 s[4:11], s[2:3], 0x30
	s_waitcnt vmcnt(0)
	v_cmp_neq_f64_e32 vcc_lo, 0, v[13:14]
	v_cmp_neq_f64_e64 s0, 0, v[15:16]
	s_load_b64 s[2:3], s[2:3], 0x50
	v_bfe_u32 v0, v0, 6, 1
	v_lshl_or_b32 v29, v8, 2, 0xc00
	v_mov_b32_e32 v18, 0
	s_waitcnt lgkmcnt(0)
	v_mad_u64_u32 v[3:4], null, v7, s14, 0
	s_delay_alu instid0(VALU_DEP_1) | instskip(SKIP_2) | instid1(VALU_DEP_1)
	v_mad_u64_u32 v[5:6], null, v7, s15, v[4:5]
	v_lshlrev_b32_e32 v1, 2, v1
	v_mul_u32_u24_e32 v4, 3, v8
	v_lshlrev_b32_e32 v30, 4, v4
	s_delay_alu instid0(VALU_DEP_4)
	v_mov_b32_e32 v4, v5
	global_load_b64 v[1:2], v1, s[4:5]
	v_lshlrev_b32_e32 v5, 4, v7
	s_or_b32 s4, vcc_lo, s0
	s_cmp_lg_u32 s16, 1
	v_lshlrev_b64 v[3:4], 4, v[3:4]
	s_cselect_b32 s5, -1, 0
	s_cmp_eq_u32 s20, 0
	v_add_co_u32 v31, s0, s12, v5
	s_cselect_b32 s1, -1, 0
	s_delay_alu instid0(VALU_DEP_2) | instskip(SKIP_3) | instid1(VALU_DEP_3)
	v_add_co_u32 v34, vcc_lo, s12, v3
	v_cndmask_b32_e64 v6, 0, 1, s1
	v_add_co_ci_u32_e64 v32, null, s13, 0, s0
	v_add_co_ci_u32_e32 v35, vcc_lo, s13, v4, vcc_lo
	v_lshlrev_b32_e32 v33, v6, v0
	s_and_b32 s1, s1, exec_lo
	s_mov_b32 s12, 0
	s_cselect_b32 s13, 1, 2
	s_waitcnt vmcnt(0)
	v_subrev_nc_u32_e32 v36, s17, v1
	v_subrev_nc_u32_e32 v37, s17, v2
	v_cmp_lt_i32_e64 s0, v1, v2
	s_branch .LBB60_11
.LBB60_10:                              ;   in Loop: Header=BB60_11 Depth=1
	s_or_b32 exec_lo, exec_lo, s1
	s_add_i32 s12, s12, 64
	s_delay_alu instid0(SALU_CYCLE_1)
	s_cmp_lt_i32 s12, s22
	s_cbranch_scc0 .LBB60_31
.LBB60_11:                              ; =>This Loop Header: Depth=1
                                        ;     Child Loop BB60_14 Depth 2
                                        ;       Child Loop BB60_18 Depth 3
	v_mov_b32_e32 v21, 0
	v_or_b32_e32 v19, s12, v8
	v_mov_b32_e32 v22, 0
	s_delay_alu instid0(VALU_DEP_2) | instskip(NEXT) | instid1(VALU_DEP_2)
	v_ashrrev_i32_e32 v20, 31, v19
	v_dual_mov_b32 v24, v22 :: v_dual_mov_b32 v23, v21
	s_and_saveexec_b32 s16, s0
	s_cbranch_execz .LBB60_20
; %bb.12:                               ;   in Loop: Header=BB60_11 Depth=1
	s_delay_alu instid0(VALU_DEP_2) | instskip(SKIP_3) | instid1(VALU_DEP_3)
	v_lshlrev_b64 v[0:1], 4, v[19:20]
	v_dual_mov_b32 v25, 0 :: v_dual_mov_b32 v40, v36
	v_mov_b32_e32 v26, 0
	v_cmp_gt_i32_e32 vcc_lo, s22, v19
	v_mov_b32_e32 v21, v25
	v_add_co_u32 v38, s1, s10, v0
	s_delay_alu instid0(VALU_DEP_4)
	v_mov_b32_e32 v22, v26
	v_add_co_ci_u32_e64 v39, s1, s11, v1, s1
	v_dual_mov_b32 v23, v25 :: v_dual_mov_b32 v24, v26
	s_mov_b32 s18, 0
	s_branch .LBB60_14
.LBB60_13:                              ;   in Loop: Header=BB60_14 Depth=2
	s_or_b32 exec_lo, exec_lo, s19
	v_add_nc_u32_e32 v40, 64, v40
	s_delay_alu instid0(VALU_DEP_1) | instskip(NEXT) | instid1(VALU_DEP_1)
	v_cmp_ge_i32_e64 s1, v40, v37
	s_or_b32 s18, s1, s18
	s_delay_alu instid0(SALU_CYCLE_1)
	s_and_not1_b32 exec_lo, exec_lo, s18
	s_cbranch_execz .LBB60_19
.LBB60_14:                              ;   Parent Loop BB60_11 Depth=1
                                        ; =>  This Loop Header: Depth=2
                                        ;       Child Loop BB60_18 Depth 3
	v_dual_mov_b32 v4, v25 :: v_dual_add_nc_u32 v27, v40, v8
	v_dual_mov_b32 v17, 0 :: v_dual_mov_b32 v6, v25
	v_dual_mov_b32 v5, v26 :: v_dual_mov_b32 v0, v25
	;; [unrolled: 1-line block ×3, first 2 shown]
	v_mov_b32_e32 v1, v26
	v_mov_b32_e32 v3, v26
	s_mov_b32 s19, exec_lo
	v_cmpx_lt_i32_e64 v27, v37
	s_cbranch_execz .LBB60_16
; %bb.15:                               ;   in Loop: Header=BB60_14 Depth=2
	v_ashrrev_i32_e32 v28, 31, v27
	v_lshl_or_b32 v17, v27, 2, v33
	s_delay_alu instid0(VALU_DEP_2) | instskip(NEXT) | instid1(VALU_DEP_2)
	v_lshlrev_b64 v[0:1], 2, v[27:28]
	v_lshlrev_b64 v[2:3], 4, v[17:18]
	v_or_b32_e32 v17, s13, v17
	s_delay_alu instid0(VALU_DEP_3) | instskip(NEXT) | instid1(VALU_DEP_1)
	v_add_co_u32 v0, s1, s6, v0
	v_add_co_ci_u32_e64 v1, s1, s7, v1, s1
	s_delay_alu instid0(VALU_DEP_3) | instskip(SKIP_2) | instid1(VALU_DEP_1)
	v_lshlrev_b64 v[4:5], 4, v[17:18]
	global_load_b32 v17, v[0:1], off
	v_add_co_u32 v0, s1, s8, v2
	v_add_co_ci_u32_e64 v1, s1, s9, v3, s1
	v_add_co_u32 v2, s1, s8, v4
	s_delay_alu instid0(VALU_DEP_1)
	v_add_co_ci_u32_e64 v3, s1, s9, v5, s1
	s_clause 0x1
	global_load_b128 v[4:7], v[0:1], off
	global_load_b128 v[0:3], v[2:3], off
	s_waitcnt vmcnt(2)
	v_subrev_nc_u32_e32 v17, s17, v17
	s_delay_alu instid0(VALU_DEP_1)
	v_lshlrev_b32_e32 v17, 1, v17
.LBB60_16:                              ;   in Loop: Header=BB60_14 Depth=2
	s_or_b32 exec_lo, exec_lo, s19
	ds_store_b32 v29, v17
	s_waitcnt vmcnt(1)
	ds_store_b128 v30, v[4:7]
	s_waitcnt vmcnt(0)
	ds_store_b128 v30, v[0:3] offset:16
	s_waitcnt lgkmcnt(0)
	s_waitcnt_vscnt null, 0x0
	s_barrier
	buffer_gl0_inv
	s_and_saveexec_b32 s19, vcc_lo
	s_cbranch_execz .LBB60_13
; %bb.17:                               ;   in Loop: Header=BB60_14 Depth=2
	v_mov_b32_e32 v0, 0
	s_mov_b32 s20, 0
.LBB60_18:                              ;   Parent Loop BB60_11 Depth=1
                                        ;     Parent Loop BB60_14 Depth=2
                                        ; =>    This Inner Loop Header: Depth=3
	s_delay_alu instid0(SALU_CYCLE_1) | instskip(SKIP_1) | instid1(SALU_CYCLE_1)
	v_add_nc_u32_e64 v1, 0xc00, s20
	s_add_i32 s20, s20, 8
	s_cmpk_lg_i32 s20, 0x100
	ds_load_b64 v[5:6], v1
	s_waitcnt lgkmcnt(0)
	v_ashrrev_i32_e32 v3, 31, v5
	v_mul_lo_u32 v4, v5, s3
	v_mad_u64_u32 v[1:2], null, v5, s2, 0
	v_add_nc_u32_e32 v5, 1, v5
	s_delay_alu instid0(VALU_DEP_4) | instskip(NEXT) | instid1(VALU_DEP_2)
	v_mul_lo_u32 v3, v3, s2
	v_ashrrev_i32_e32 v7, 31, v5
	v_mul_lo_u32 v17, v5, s3
	v_mad_u64_u32 v[27:28], null, v5, s2, 0
	s_delay_alu instid0(VALU_DEP_4) | instskip(NEXT) | instid1(VALU_DEP_4)
	v_add3_u32 v2, v2, v4, v3
	v_mul_lo_u32 v5, v7, s2
	v_mul_lo_u32 v7, v6, s3
	s_delay_alu instid0(VALU_DEP_3) | instskip(NEXT) | instid1(VALU_DEP_3)
	v_lshlrev_b64 v[1:2], 4, v[1:2]
	v_add3_u32 v28, v28, v17, v5
	v_ashrrev_i32_e32 v5, 31, v6
	s_delay_alu instid0(VALU_DEP_3) | instskip(NEXT) | instid1(VALU_DEP_1)
	v_add_co_u32 v1, s1, v38, v1
	v_add_co_ci_u32_e64 v2, s1, v39, v2, s1
	s_delay_alu instid0(VALU_DEP_4) | instskip(NEXT) | instid1(VALU_DEP_4)
	v_lshlrev_b64 v[27:28], 4, v[27:28]
	v_mul_lo_u32 v5, v5, s2
	global_load_b128 v[1:4], v[1:2], off
	v_add_co_u32 v27, s1, v38, v27
	s_delay_alu instid0(VALU_DEP_1) | instskip(SKIP_2) | instid1(VALU_DEP_1)
	v_add_co_ci_u32_e64 v28, s1, v39, v28, s1
	global_load_b128 v[41:44], v[27:28], off
	v_mad_u64_u32 v[27:28], null, v6, s2, 0
	v_add3_u32 v28, v28, v7, v5
	v_add_nc_u32_e32 v7, 1, v6
	s_delay_alu instid0(VALU_DEP_2) | instskip(NEXT) | instid1(VALU_DEP_2)
	v_lshlrev_b64 v[27:28], 4, v[27:28]
	v_ashrrev_i32_e32 v17, 31, v7
	v_mad_u64_u32 v[5:6], null, v7, s2, 0
	s_delay_alu instid0(VALU_DEP_3) | instskip(NEXT) | instid1(VALU_DEP_1)
	v_add_co_u32 v27, s1, v38, v27
	v_add_co_ci_u32_e64 v28, s1, v39, v28, s1
	global_load_b128 v[45:48], v[27:28], off
	v_mul_lo_u32 v27, v7, s3
	v_mul_lo_u32 v7, v17, s2
	s_delay_alu instid0(VALU_DEP_1) | instskip(NEXT) | instid1(VALU_DEP_1)
	v_add3_u32 v6, v6, v27, v7
	v_lshlrev_b64 v[5:6], 4, v[5:6]
	s_delay_alu instid0(VALU_DEP_1) | instskip(NEXT) | instid1(VALU_DEP_1)
	v_add_co_u32 v5, s1, v38, v5
	v_add_co_ci_u32_e64 v6, s1, v39, v6, s1
	global_load_b128 v[49:52], v[5:6], off
	ds_load_b128 v[53:56], v0
	ds_load_b128 v[57:60], v0 offset:16
	s_waitcnt vmcnt(3) lgkmcnt(1)
	v_fma_f64 v[5:6], v[53:54], v[1:2], v[23:24]
	v_fma_f64 v[1:2], v[55:56], v[1:2], v[21:22]
	s_delay_alu instid0(VALU_DEP_2) | instskip(NEXT) | instid1(VALU_DEP_2)
	v_fma_f64 v[5:6], -v[55:56], v[3:4], v[5:6]
	v_fma_f64 v[1:2], v[53:54], v[3:4], v[1:2]
	s_waitcnt vmcnt(2) lgkmcnt(0)
	s_delay_alu instid0(VALU_DEP_2) | instskip(NEXT) | instid1(VALU_DEP_2)
	v_fma_f64 v[3:4], v[57:58], v[41:42], v[5:6]
	v_fma_f64 v[1:2], v[59:60], v[41:42], v[1:2]
	s_delay_alu instid0(VALU_DEP_2) | instskip(NEXT) | instid1(VALU_DEP_2)
	v_fma_f64 v[5:6], -v[59:60], v[43:44], v[3:4]
	v_fma_f64 v[27:28], v[57:58], v[43:44], v[1:2]
	ds_load_b128 v[1:4], v0 offset:48
	ds_load_b128 v[21:24], v0 offset:64
	v_add_nc_u32_e32 v0, 0x60, v0
	s_waitcnt vmcnt(1) lgkmcnt(1)
	v_fma_f64 v[5:6], v[1:2], v[45:46], v[5:6]
	v_fma_f64 v[27:28], v[3:4], v[45:46], v[27:28]
	s_delay_alu instid0(VALU_DEP_2) | instskip(NEXT) | instid1(VALU_DEP_2)
	v_fma_f64 v[3:4], -v[3:4], v[47:48], v[5:6]
	v_fma_f64 v[1:2], v[1:2], v[47:48], v[27:28]
	s_waitcnt vmcnt(0) lgkmcnt(0)
	s_delay_alu instid0(VALU_DEP_2) | instskip(NEXT) | instid1(VALU_DEP_2)
	v_fma_f64 v[3:4], v[21:22], v[49:50], v[3:4]
	v_fma_f64 v[1:2], v[23:24], v[49:50], v[1:2]
	s_delay_alu instid0(VALU_DEP_2) | instskip(NEXT) | instid1(VALU_DEP_2)
	v_fma_f64 v[23:24], -v[23:24], v[51:52], v[3:4]
	v_fma_f64 v[21:22], v[21:22], v[51:52], v[1:2]
	s_cbranch_scc1 .LBB60_18
	s_branch .LBB60_13
.LBB60_19:                              ;   in Loop: Header=BB60_11 Depth=1
	s_or_b32 exec_lo, exec_lo, s18
.LBB60_20:                              ;   in Loop: Header=BB60_11 Depth=1
	s_delay_alu instid0(SALU_CYCLE_1) | instskip(NEXT) | instid1(SALU_CYCLE_1)
	s_or_b32 exec_lo, exec_lo, s16
	s_mov_b32 s1, exec_lo
	v_cmpx_gt_i32_e64 s22, v19
	s_cbranch_execz .LBB60_10
; %bb.21:                               ;   in Loop: Header=BB60_11 Depth=1
	s_and_saveexec_b32 s16, s4
	s_delay_alu instid0(SALU_CYCLE_1)
	s_xor_b32 s16, exec_lo, s16
	s_cbranch_execz .LBB60_26
; %bb.22:                               ;   in Loop: Header=BB60_11 Depth=1
	s_and_b32 vcc_lo, exec_lo, s5
	s_mov_b32 s18, -1
	s_cbranch_vccz .LBB60_24
; %bb.23:                               ;   in Loop: Header=BB60_11 Depth=1
	v_lshlrev_b64 v[0:1], 4, v[19:20]
	v_mul_f64 v[6:7], v[21:22], -v[11:12]
	v_mul_f64 v[25:26], v[9:10], v[21:22]
	s_mov_b32 s18, 0
	s_delay_alu instid0(VALU_DEP_3) | instskip(NEXT) | instid1(VALU_DEP_4)
	v_add_co_u32 v4, vcc_lo, v34, v0
	v_add_co_ci_u32_e32 v5, vcc_lo, v35, v1, vcc_lo
	global_load_b128 v[0:3], v[4:5], off
	v_fma_f64 v[6:7], v[9:10], v[23:24], v[6:7]
	v_fma_f64 v[25:26], v[11:12], v[23:24], v[25:26]
	s_waitcnt vmcnt(0)
	s_delay_alu instid0(VALU_DEP_2) | instskip(NEXT) | instid1(VALU_DEP_2)
	v_fma_f64 v[6:7], v[13:14], v[0:1], v[6:7]
	v_fma_f64 v[25:26], v[15:16], v[0:1], v[25:26]
	s_delay_alu instid0(VALU_DEP_2) | instskip(NEXT) | instid1(VALU_DEP_2)
	v_fma_f64 v[0:1], -v[15:16], v[2:3], v[6:7]
	v_fma_f64 v[2:3], v[13:14], v[2:3], v[25:26]
	global_store_b128 v[4:5], v[0:3], off
.LBB60_24:                              ;   in Loop: Header=BB60_11 Depth=1
	s_and_not1_b32 vcc_lo, exec_lo, s18
	s_cbranch_vccnz .LBB60_26
; %bb.25:                               ;   in Loop: Header=BB60_11 Depth=1
	v_mul_lo_u32 v2, v20, s14
	v_mul_lo_u32 v3, v19, s15
	v_mad_u64_u32 v[0:1], null, v19, s14, 0
	v_mul_f64 v[6:7], v[21:22], -v[11:12]
	v_mul_f64 v[19:20], v[9:10], v[21:22]
                                        ; implicit-def: $vgpr21_vgpr22
	s_delay_alu instid0(VALU_DEP_3) | instskip(NEXT) | instid1(VALU_DEP_1)
	v_add3_u32 v1, v1, v3, v2
	v_lshlrev_b64 v[0:1], 4, v[0:1]
	s_delay_alu instid0(VALU_DEP_1) | instskip(NEXT) | instid1(VALU_DEP_2)
	v_add_co_u32 v4, vcc_lo, v31, v0
	v_add_co_ci_u32_e32 v5, vcc_lo, v32, v1, vcc_lo
	global_load_b128 v[0:3], v[4:5], off
	v_fma_f64 v[6:7], v[9:10], v[23:24], v[6:7]
	v_fma_f64 v[19:20], v[11:12], v[23:24], v[19:20]
                                        ; implicit-def: $vgpr23_vgpr24
	s_waitcnt vmcnt(0)
	s_delay_alu instid0(VALU_DEP_2) | instskip(NEXT) | instid1(VALU_DEP_2)
	v_fma_f64 v[6:7], v[13:14], v[0:1], v[6:7]
	v_fma_f64 v[19:20], v[15:16], v[0:1], v[19:20]
	s_delay_alu instid0(VALU_DEP_2) | instskip(NEXT) | instid1(VALU_DEP_2)
	v_fma_f64 v[0:1], -v[15:16], v[2:3], v[6:7]
	v_fma_f64 v[2:3], v[13:14], v[2:3], v[19:20]
                                        ; implicit-def: $vgpr19
	global_store_b128 v[4:5], v[0:3], off
.LBB60_26:                              ;   in Loop: Header=BB60_11 Depth=1
	s_and_not1_saveexec_b32 s16, s16
	s_cbranch_execz .LBB60_10
; %bb.27:                               ;   in Loop: Header=BB60_11 Depth=1
	s_delay_alu instid0(VALU_DEP_4) | instskip(SKIP_3) | instid1(VALU_DEP_2)
	v_mul_f64 v[0:1], v[21:22], -v[11:12]
	v_mul_f64 v[2:3], v[9:10], v[21:22]
	s_and_b32 vcc_lo, exec_lo, s5
	s_mov_b32 s16, -1
	v_fma_f64 v[0:1], v[9:10], v[23:24], v[0:1]
	s_delay_alu instid0(VALU_DEP_2)
	v_fma_f64 v[2:3], v[11:12], v[23:24], v[2:3]
	s_cbranch_vccz .LBB60_29
; %bb.28:                               ;   in Loop: Header=BB60_11 Depth=1
	v_lshlrev_b64 v[4:5], 4, v[19:20]
	s_mov_b32 s16, 0
	s_delay_alu instid0(VALU_DEP_1) | instskip(NEXT) | instid1(VALU_DEP_2)
	v_add_co_u32 v4, vcc_lo, v34, v4
	v_add_co_ci_u32_e32 v5, vcc_lo, v35, v5, vcc_lo
	global_store_b128 v[4:5], v[0:3], off
.LBB60_29:                              ;   in Loop: Header=BB60_11 Depth=1
	s_and_not1_b32 vcc_lo, exec_lo, s16
	s_cbranch_vccnz .LBB60_10
; %bb.30:                               ;   in Loop: Header=BB60_11 Depth=1
	v_mul_lo_u32 v6, v20, s14
	v_mul_lo_u32 v7, v19, s15
	v_mad_u64_u32 v[4:5], null, v19, s14, 0
	s_delay_alu instid0(VALU_DEP_1) | instskip(NEXT) | instid1(VALU_DEP_1)
	v_add3_u32 v5, v5, v7, v6
	v_lshlrev_b64 v[4:5], 4, v[4:5]
	s_delay_alu instid0(VALU_DEP_1) | instskip(NEXT) | instid1(VALU_DEP_2)
	v_add_co_u32 v4, vcc_lo, v31, v4
	v_add_co_ci_u32_e32 v5, vcc_lo, v32, v5, vcc_lo
	global_store_b128 v[4:5], v[0:3], off
	s_branch .LBB60_10
.LBB60_31:
	s_endpgm
	.section	.rodata,"a",@progbits
	.p2align	6, 0x0
	.amdhsa_kernel _ZN9rocsparseL29bsrmmnt_small_blockdim_kernelILj64ELj64ELj2Eii21rocsparse_complex_numIdES2_S2_S2_EEv20rocsparse_direction_T3_S4_llNS_24const_host_device_scalarIT7_EEPKT2_PKS4_PKT4_PKT5_llS7_PT6_ll16rocsparse_order_21rocsparse_index_base_b
		.amdhsa_group_segment_fixed_size 3840
		.amdhsa_private_segment_fixed_size 16
		.amdhsa_kernarg_size 408
		.amdhsa_user_sgpr_count 15
		.amdhsa_user_sgpr_dispatch_ptr 1
		.amdhsa_user_sgpr_queue_ptr 0
		.amdhsa_user_sgpr_kernarg_segment_ptr 1
		.amdhsa_user_sgpr_dispatch_id 0
		.amdhsa_user_sgpr_private_segment_size 0
		.amdhsa_wavefront_size32 1
		.amdhsa_uses_dynamic_stack 0
		.amdhsa_enable_private_segment 1
		.amdhsa_system_sgpr_workgroup_id_x 1
		.amdhsa_system_sgpr_workgroup_id_y 0
		.amdhsa_system_sgpr_workgroup_id_z 0
		.amdhsa_system_sgpr_workgroup_info 0
		.amdhsa_system_vgpr_workitem_id 2
		.amdhsa_next_free_vgpr 61
		.amdhsa_next_free_sgpr 24
		.amdhsa_reserve_vcc 1
		.amdhsa_float_round_mode_32 0
		.amdhsa_float_round_mode_16_64 0
		.amdhsa_float_denorm_mode_32 3
		.amdhsa_float_denorm_mode_16_64 3
		.amdhsa_dx10_clamp 1
		.amdhsa_ieee_mode 1
		.amdhsa_fp16_overflow 0
		.amdhsa_workgroup_processor_mode 1
		.amdhsa_memory_ordered 1
		.amdhsa_forward_progress 0
		.amdhsa_shared_vgpr_count 0
		.amdhsa_exception_fp_ieee_invalid_op 0
		.amdhsa_exception_fp_denorm_src 0
		.amdhsa_exception_fp_ieee_div_zero 0
		.amdhsa_exception_fp_ieee_overflow 0
		.amdhsa_exception_fp_ieee_underflow 0
		.amdhsa_exception_fp_ieee_inexact 0
		.amdhsa_exception_int_div_zero 0
	.end_amdhsa_kernel
	.section	.text._ZN9rocsparseL29bsrmmnt_small_blockdim_kernelILj64ELj64ELj2Eii21rocsparse_complex_numIdES2_S2_S2_EEv20rocsparse_direction_T3_S4_llNS_24const_host_device_scalarIT7_EEPKT2_PKS4_PKT4_PKT5_llS7_PT6_ll16rocsparse_order_21rocsparse_index_base_b,"axG",@progbits,_ZN9rocsparseL29bsrmmnt_small_blockdim_kernelILj64ELj64ELj2Eii21rocsparse_complex_numIdES2_S2_S2_EEv20rocsparse_direction_T3_S4_llNS_24const_host_device_scalarIT7_EEPKT2_PKS4_PKT4_PKT5_llS7_PT6_ll16rocsparse_order_21rocsparse_index_base_b,comdat
.Lfunc_end60:
	.size	_ZN9rocsparseL29bsrmmnt_small_blockdim_kernelILj64ELj64ELj2Eii21rocsparse_complex_numIdES2_S2_S2_EEv20rocsparse_direction_T3_S4_llNS_24const_host_device_scalarIT7_EEPKT2_PKS4_PKT4_PKT5_llS7_PT6_ll16rocsparse_order_21rocsparse_index_base_b, .Lfunc_end60-_ZN9rocsparseL29bsrmmnt_small_blockdim_kernelILj64ELj64ELj2Eii21rocsparse_complex_numIdES2_S2_S2_EEv20rocsparse_direction_T3_S4_llNS_24const_host_device_scalarIT7_EEPKT2_PKS4_PKT4_PKT5_llS7_PT6_ll16rocsparse_order_21rocsparse_index_base_b
                                        ; -- End function
	.section	.AMDGPU.csdata,"",@progbits
; Kernel info:
; codeLenInByte = 2184
; NumSgprs: 26
; NumVgprs: 61
; ScratchSize: 16
; MemoryBound: 0
; FloatMode: 240
; IeeeMode: 1
; LDSByteSize: 3840 bytes/workgroup (compile time only)
; SGPRBlocks: 3
; VGPRBlocks: 7
; NumSGPRsForWavesPerEU: 26
; NumVGPRsForWavesPerEU: 61
; Occupancy: 16
; WaveLimiterHint : 0
; COMPUTE_PGM_RSRC2:SCRATCH_EN: 1
; COMPUTE_PGM_RSRC2:USER_SGPR: 15
; COMPUTE_PGM_RSRC2:TRAP_HANDLER: 0
; COMPUTE_PGM_RSRC2:TGID_X_EN: 1
; COMPUTE_PGM_RSRC2:TGID_Y_EN: 0
; COMPUTE_PGM_RSRC2:TGID_Z_EN: 0
; COMPUTE_PGM_RSRC2:TIDIG_COMP_CNT: 2
	.section	.text._ZN9rocsparseL29bsrmmnt_small_blockdim_kernelILj64ELj8ELj2Eli21rocsparse_complex_numIdES2_S2_S2_EEv20rocsparse_direction_T3_S4_llNS_24const_host_device_scalarIT7_EEPKT2_PKS4_PKT4_PKT5_llS7_PT6_ll16rocsparse_order_21rocsparse_index_base_b,"axG",@progbits,_ZN9rocsparseL29bsrmmnt_small_blockdim_kernelILj64ELj8ELj2Eli21rocsparse_complex_numIdES2_S2_S2_EEv20rocsparse_direction_T3_S4_llNS_24const_host_device_scalarIT7_EEPKT2_PKS4_PKT4_PKT5_llS7_PT6_ll16rocsparse_order_21rocsparse_index_base_b,comdat
	.globl	_ZN9rocsparseL29bsrmmnt_small_blockdim_kernelILj64ELj8ELj2Eli21rocsparse_complex_numIdES2_S2_S2_EEv20rocsparse_direction_T3_S4_llNS_24const_host_device_scalarIT7_EEPKT2_PKS4_PKT4_PKT5_llS7_PT6_ll16rocsparse_order_21rocsparse_index_base_b ; -- Begin function _ZN9rocsparseL29bsrmmnt_small_blockdim_kernelILj64ELj8ELj2Eli21rocsparse_complex_numIdES2_S2_S2_EEv20rocsparse_direction_T3_S4_llNS_24const_host_device_scalarIT7_EEPKT2_PKS4_PKT4_PKT5_llS7_PT6_ll16rocsparse_order_21rocsparse_index_base_b
	.p2align	8
	.type	_ZN9rocsparseL29bsrmmnt_small_blockdim_kernelILj64ELj8ELj2Eli21rocsparse_complex_numIdES2_S2_S2_EEv20rocsparse_direction_T3_S4_llNS_24const_host_device_scalarIT7_EEPKT2_PKS4_PKT4_PKT5_llS7_PT6_ll16rocsparse_order_21rocsparse_index_base_b,@function
_ZN9rocsparseL29bsrmmnt_small_blockdim_kernelILj64ELj8ELj2Eli21rocsparse_complex_numIdES2_S2_S2_EEv20rocsparse_direction_T3_S4_llNS_24const_host_device_scalarIT7_EEPKT2_PKS4_PKT4_PKT5_llS7_PT6_ll16rocsparse_order_21rocsparse_index_base_b: ; @_ZN9rocsparseL29bsrmmnt_small_blockdim_kernelILj64ELj8ELj2Eli21rocsparse_complex_numIdES2_S2_S2_EEv20rocsparse_direction_T3_S4_llNS_24const_host_device_scalarIT7_EEPKT2_PKS4_PKT4_PKT5_llS7_PT6_ll16rocsparse_order_21rocsparse_index_base_b
; %bb.0:
	s_load_b128 s[16:19], s[2:3], 0x88
	s_load_b64 s[12:13], s[0:1], 0x4
	s_load_b128 s[8:11], s[2:3], 0x20
	v_bfe_u32 v2, v0, 10, 10
	s_mov_b64 s[0:1], src_shared_base
	s_load_b128 s[4:7], s[2:3], 0x60
	v_and_b32_e32 v1, 0x3ff, v0
	v_bfe_u32 v0, v0, 20, 10
	s_waitcnt lgkmcnt(0)
	s_bitcmp1_b32 s18, 0
	v_mul_u32_u24_e32 v2, s13, v2
	s_cselect_b32 s0, -1, 0
	v_mov_b32_e32 v10, s10
	s_and_b32 vcc_lo, s0, exec_lo
	s_cselect_b32 s1, s1, s9
	s_lshr_b32 s12, s12, 16
	v_dual_mov_b32 v4, s4 :: v_dual_mov_b32 v5, s5
	s_mul_i32 s12, s12, s13
	v_mov_b32_e32 v7, s1
	v_mad_u32_u24 v2, s12, v1, v2
	v_mov_b32_e32 v11, s11
	scratch_store_b64 off, v[4:5], off
	s_xor_b32 s1, s0, -1
	v_add_lshl_u32 v0, v2, v0, 3
	v_dual_mov_b32 v2, s8 :: v_dual_mov_b32 v3, s9
	s_delay_alu instid0(VALU_DEP_2)
	v_add_nc_u32_e32 v6, 0xd00, v0
	ds_store_b64 v0, v[2:3] offset:3328
	v_cndmask_b32_e64 v6, s8, v6, s0
	flat_load_b64 v[8:9], v[6:7]
	s_cbranch_vccnz .LBB61_2
; %bb.1:
	v_dual_mov_b32 v2, s8 :: v_dual_mov_b32 v3, s9
	flat_load_b64 v[10:11], v[2:3] offset:8
.LBB61_2:
	s_mov_b64 s[8:9], src_private_base
	s_and_b32 s8, s0, exec_lo
	s_cselect_b32 s8, s9, s5
	s_delay_alu instid0(SALU_CYCLE_1) | instskip(SKIP_2) | instid1(VALU_DEP_2)
	v_dual_mov_b32 v0, 0 :: v_dual_mov_b32 v3, s8
	v_dual_mov_b32 v15, s7 :: v_dual_mov_b32 v14, s6
	s_and_not1_b32 vcc_lo, exec_lo, s1
	v_cndmask_b32_e64 v2, s4, v0, s0
	flat_load_b64 v[12:13], v[2:3]
	s_cbranch_vccnz .LBB61_4
; %bb.3:
	v_dual_mov_b32 v2, s4 :: v_dual_mov_b32 v3, s5
	flat_load_b64 v[14:15], v[2:3] offset:8
.LBB61_4:
	s_waitcnt vmcnt(1) lgkmcnt(1)
	v_cmp_eq_f64_e32 vcc_lo, 0, v[8:9]
	v_cmp_eq_f64_e64 s0, 0, v[10:11]
	s_delay_alu instid0(VALU_DEP_1)
	s_and_b32 s4, vcc_lo, s0
	s_mov_b32 s0, -1
	s_and_saveexec_b32 s1, s4
	s_cbranch_execz .LBB61_6
; %bb.5:
	s_waitcnt vmcnt(0) lgkmcnt(0)
	v_cmp_neq_f64_e32 vcc_lo, 1.0, v[12:13]
	v_cmp_neq_f64_e64 s0, 0, v[14:15]
	s_delay_alu instid0(VALU_DEP_1) | instskip(NEXT) | instid1(SALU_CYCLE_1)
	s_or_b32 s0, vcc_lo, s0
	s_or_not1_b32 s0, s0, exec_lo
.LBB61_6:
	s_or_b32 exec_lo, exec_lo, s1
	s_and_saveexec_b32 s1, s0
	s_cbranch_execz .LBB61_33
; %bb.7:
	s_clause 0x1
	s_load_b32 s0, s[2:3], 0xa4
	s_load_b128 s[20:23], s[2:3], 0x0
	s_waitcnt lgkmcnt(0)
	s_and_b32 s0, s0, 0xffff
	s_delay_alu instid0(SALU_CYCLE_1) | instskip(NEXT) | instid1(VALU_DEP_1)
	v_mad_u64_u32 v[2:3], null, s15, s0, v[1:2]
	v_lshrrev_b32_e32 v0, 4, v2
	s_delay_alu instid0(VALU_DEP_1)
	v_cmp_gt_i32_e32 vcc_lo, s21, v0
	s_and_b32 exec_lo, exec_lo, vcc_lo
	s_cbranch_execz .LBB61_33
; %bb.8:
	s_cmp_lt_i32 s22, 1
	s_cbranch_scc1 .LBB61_33
; %bb.9:
	s_load_b256 s[4:11], s[2:3], 0x30
	v_dual_mov_b32 v17, 0 :: v_dual_lshlrev_b32 v0, 3, v0
	s_load_b128 s[12:15], s[2:3], 0x70
	s_waitcnt vmcnt(0)
	v_cmp_neq_f64_e32 vcc_lo, 0, v[12:13]
	v_cmp_neq_f64_e64 s0, 0, v[14:15]
	v_lshrrev_b32_e32 v16, 3, v2
	v_and_b32_e32 v32, 7, v1
	s_load_b64 s[2:3], s[2:3], 0x50
	v_lshrrev_b32_e32 v7, 3, v1
	v_bfe_u32 v2, v2, 3, 1
	s_delay_alu instid0(VALU_DEP_2) | instskip(SKIP_4) | instid1(VALU_DEP_1)
	v_lshl_or_b32 v33, v7, 5, 0xc00
	v_mul_u32_u24_e32 v34, 0x180, v7
	s_waitcnt lgkmcnt(0)
	global_load_b128 v[3:6], v0, s[4:5]
	v_mad_u64_u32 v[18:19], null, v16, s14, 0
	v_mov_b32_e32 v0, v19
	s_delay_alu instid0(VALU_DEP_1) | instskip(SKIP_4) | instid1(VALU_DEP_4)
	v_mad_u64_u32 v[19:20], null, v16, s15, v[0:1]
	v_mul_u32_u24_e32 v20, 3, v32
	v_lshlrev_b64 v[0:1], 4, v[16:17]
	v_lshl_or_b32 v16, v32, 2, v33
	s_or_b32 s18, vcc_lo, s0
	v_lshlrev_b64 v[18:19], 4, v[18:19]
	s_cmp_lg_u32 s16, 1
	v_lshlrev_b32_e32 v20, 4, v20
	s_cselect_b32 s16, -1, 0
	s_cmp_eq_u32 s20, 0
	s_delay_alu instid0(VALU_DEP_2)
	v_add_co_u32 v36, vcc_lo, s12, v18
	v_add_co_ci_u32_e32 v37, vcc_lo, s13, v19, vcc_lo
	s_cselect_b32 s1, -1, 0
	v_mad_u32_u24 v35, 0x180, v7, v20
	v_cndmask_b32_e64 v7, 0, 1, s1
	s_and_b32 s1, s1, exec_lo
	s_delay_alu instid0(VALU_DEP_1)
	v_lshlrev_b32_e32 v40, v7, v2
	s_waitcnt vmcnt(0)
	v_sub_co_u32 v18, vcc_lo, v3, s17
	v_subrev_co_ci_u32_e32 v19, vcc_lo, 0, v4, vcc_lo
	v_sub_co_u32 v20, vcc_lo, v5, s17
	v_subrev_co_ci_u32_e32 v21, vcc_lo, 0, v6, vcc_lo
	v_add_co_u32 v38, vcc_lo, s12, v0
	v_cmp_lt_i64_e64 s0, v[3:4], v[5:6]
	v_add_co_ci_u32_e32 v39, vcc_lo, s13, v1, vcc_lo
	s_mov_b32 s12, 0
	s_cselect_b32 s13, 1, 2
	s_branch .LBB61_11
.LBB61_10:                              ;   in Loop: Header=BB61_11 Depth=1
	s_or_b32 exec_lo, exec_lo, s1
	s_add_i32 s12, s12, 8
	s_delay_alu instid0(SALU_CYCLE_1)
	s_cmp_lt_i32 s12, s22
	s_cbranch_scc0 .LBB61_33
.LBB61_11:                              ; =>This Loop Header: Depth=1
                                        ;     Child Loop BB61_14 Depth 2
                                        ;       Child Loop BB61_20 Depth 3
	v_mov_b32_e32 v24, 0
	v_or_b32_e32 v22, s12, v32
	v_mov_b32_e32 v25, 0
	s_delay_alu instid0(VALU_DEP_2) | instskip(NEXT) | instid1(VALU_DEP_2)
	v_ashrrev_i32_e32 v23, 31, v22
	v_dual_mov_b32 v27, v25 :: v_dual_mov_b32 v26, v24
	s_and_saveexec_b32 s19, s0
	s_cbranch_execz .LBB61_22
; %bb.12:                               ;   in Loop: Header=BB61_11 Depth=1
	s_delay_alu instid0(VALU_DEP_2) | instskip(SKIP_3) | instid1(VALU_DEP_4)
	v_lshlrev_b64 v[0:1], 4, v[22:23]
	v_dual_mov_b32 v24, 0 :: v_dual_mov_b32 v29, v19
	v_dual_mov_b32 v25, 0 :: v_dual_mov_b32 v28, v18
	v_cmp_gt_i32_e32 vcc_lo, s22, v22
	v_add_co_u32 v41, s1, s10, v0
	s_delay_alu instid0(VALU_DEP_1) | instskip(NEXT) | instid1(VALU_DEP_4)
	v_add_co_ci_u32_e64 v42, s1, s11, v1, s1
	v_dual_mov_b32 v27, v25 :: v_dual_mov_b32 v26, v24
	s_mov_b32 s20, 0
	s_branch .LBB61_14
.LBB61_13:                              ;   in Loop: Header=BB61_14 Depth=2
	s_or_b32 exec_lo, exec_lo, s4
	v_add_co_u32 v28, s1, v28, 8
	s_delay_alu instid0(VALU_DEP_1) | instskip(NEXT) | instid1(VALU_DEP_1)
	v_add_co_ci_u32_e64 v29, s1, 0, v29, s1
	v_cmp_ge_i64_e64 s1, v[28:29], v[20:21]
	s_delay_alu instid0(VALU_DEP_1) | instskip(NEXT) | instid1(SALU_CYCLE_1)
	s_or_b32 s20, s1, s20
	s_and_not1_b32 exec_lo, exec_lo, s20
	s_cbranch_execz .LBB61_21
.LBB61_14:                              ;   Parent Loop BB61_11 Depth=1
                                        ; =>  This Loop Header: Depth=2
                                        ;       Child Loop BB61_20 Depth 3
	v_add_co_u32 v30, s1, v28, v32
	s_delay_alu instid0(VALU_DEP_1) | instskip(NEXT) | instid1(VALU_DEP_1)
	v_add_co_ci_u32_e64 v31, s1, 0, v29, s1
                                        ; implicit-def: $sgpr4_sgpr5
	v_cmp_ge_i64_e64 s1, v[30:31], v[20:21]
	s_delay_alu instid0(VALU_DEP_1) | instskip(NEXT) | instid1(SALU_CYCLE_1)
	s_and_saveexec_b32 s21, s1
	s_xor_b32 s1, exec_lo, s21
	s_cbranch_execz .LBB61_16
; %bb.15:                               ;   in Loop: Header=BB61_14 Depth=2
	s_mov_b64 s[4:5], 0
	ds_store_b32 v16, v17
                                        ; implicit-def: $vgpr30_vgpr31
.LBB61_16:                              ;   in Loop: Header=BB61_14 Depth=2
	s_or_saveexec_b32 s21, s1
	v_dual_mov_b32 v4, s4 :: v_dual_mov_b32 v5, s5
	v_dual_mov_b32 v7, s5 :: v_dual_mov_b32 v6, s4
	;; [unrolled: 1-line block ×4, first 2 shown]
	s_xor_b32 exec_lo, exec_lo, s21
	s_cbranch_execz .LBB61_18
; %bb.17:                               ;   in Loop: Header=BB61_14 Depth=2
	v_lshlrev_b64 v[0:1], 2, v[30:31]
	s_delay_alu instid0(VALU_DEP_1) | instskip(NEXT) | instid1(VALU_DEP_2)
	v_or_b32_e32 v3, 0, v1
	v_or_b32_e32 v2, v0, v40
	v_add_co_u32 v0, s1, s6, v0
	s_delay_alu instid0(VALU_DEP_1) | instskip(NEXT) | instid1(VALU_DEP_4)
	v_add_co_ci_u32_e64 v1, s1, s7, v1, s1
	v_or_b32_e32 v5, 0, v3
	s_delay_alu instid0(VALU_DEP_4) | instskip(SKIP_4) | instid1(VALU_DEP_1)
	v_or_b32_e32 v4, s13, v2
	v_lshlrev_b64 v[2:3], 4, v[2:3]
	global_load_b32 v30, v[0:1], off
	v_lshlrev_b64 v[0:1], 4, v[4:5]
	v_add_co_u32 v2, s1, s8, v2
	v_add_co_ci_u32_e64 v3, s1, s9, v3, s1
	s_delay_alu instid0(VALU_DEP_3) | instskip(NEXT) | instid1(VALU_DEP_1)
	v_add_co_u32 v0, s1, s8, v0
	v_add_co_ci_u32_e64 v1, s1, s9, v1, s1
	s_clause 0x1
	global_load_b128 v[4:7], v[2:3], off
	global_load_b128 v[0:3], v[0:1], off
	s_waitcnt vmcnt(2)
	v_subrev_nc_u32_e32 v30, s17, v30
	s_delay_alu instid0(VALU_DEP_1)
	v_lshlrev_b32_e32 v30, 1, v30
	ds_store_b32 v16, v30
.LBB61_18:                              ;   in Loop: Header=BB61_14 Depth=2
	s_or_b32 exec_lo, exec_lo, s21
	s_waitcnt vmcnt(1)
	ds_store_b128 v35, v[4:7]
	s_waitcnt vmcnt(0)
	ds_store_b128 v35, v[0:3] offset:16
	s_waitcnt lgkmcnt(0)
	s_waitcnt_vscnt null, 0x0
	s_barrier
	buffer_gl0_inv
	s_and_saveexec_b32 s4, vcc_lo
	s_cbranch_execz .LBB61_13
; %bb.19:                               ;   in Loop: Header=BB61_14 Depth=2
	v_mov_b32_e32 v0, v34
	s_mov_b32 s5, 0
.LBB61_20:                              ;   Parent Loop BB61_11 Depth=1
                                        ;     Parent Loop BB61_14 Depth=2
                                        ; =>    This Inner Loop Header: Depth=3
	s_delay_alu instid0(SALU_CYCLE_1) | instskip(SKIP_1) | instid1(SALU_CYCLE_1)
	v_add_nc_u32_e32 v1, s5, v33
	s_add_i32 s5, s5, 8
	s_cmp_lg_u32 s5, 32
	ds_load_b64 v[5:6], v1
	s_waitcnt lgkmcnt(0)
	v_ashrrev_i32_e32 v3, 31, v5
	v_mul_lo_u32 v4, v5, s3
	v_mad_u64_u32 v[1:2], null, v5, s2, 0
	v_add_nc_u32_e32 v5, 1, v5
	s_delay_alu instid0(VALU_DEP_4) | instskip(NEXT) | instid1(VALU_DEP_2)
	v_mul_lo_u32 v3, v3, s2
	v_ashrrev_i32_e32 v7, 31, v5
	v_mul_lo_u32 v43, v5, s3
	v_mad_u64_u32 v[30:31], null, v5, s2, 0
	s_delay_alu instid0(VALU_DEP_4) | instskip(NEXT) | instid1(VALU_DEP_4)
	v_add3_u32 v2, v2, v4, v3
	v_mul_lo_u32 v5, v7, s2
	v_mul_lo_u32 v7, v6, s3
	s_delay_alu instid0(VALU_DEP_3) | instskip(NEXT) | instid1(VALU_DEP_3)
	v_lshlrev_b64 v[1:2], 4, v[1:2]
	v_add3_u32 v31, v31, v43, v5
	v_ashrrev_i32_e32 v5, 31, v6
	s_delay_alu instid0(VALU_DEP_3) | instskip(NEXT) | instid1(VALU_DEP_1)
	v_add_co_u32 v1, s1, v41, v1
	v_add_co_ci_u32_e64 v2, s1, v42, v2, s1
	s_delay_alu instid0(VALU_DEP_4) | instskip(NEXT) | instid1(VALU_DEP_4)
	v_lshlrev_b64 v[30:31], 4, v[30:31]
	v_mul_lo_u32 v5, v5, s2
	global_load_b128 v[1:4], v[1:2], off
	v_add_co_u32 v30, s1, v41, v30
	s_delay_alu instid0(VALU_DEP_1) | instskip(SKIP_2) | instid1(VALU_DEP_1)
	v_add_co_ci_u32_e64 v31, s1, v42, v31, s1
	global_load_b128 v[43:46], v[30:31], off
	v_mad_u64_u32 v[30:31], null, v6, s2, 0
	v_add3_u32 v31, v31, v7, v5
	v_add_nc_u32_e32 v7, 1, v6
	s_delay_alu instid0(VALU_DEP_2) | instskip(NEXT) | instid1(VALU_DEP_2)
	v_lshlrev_b64 v[30:31], 4, v[30:31]
	v_mad_u64_u32 v[5:6], null, v7, s2, 0
	s_delay_alu instid0(VALU_DEP_2) | instskip(NEXT) | instid1(VALU_DEP_1)
	v_add_co_u32 v30, s1, v41, v30
	v_add_co_ci_u32_e64 v31, s1, v42, v31, s1
	global_load_b128 v[47:50], v[30:31], off
	v_ashrrev_i32_e32 v30, 31, v7
	v_mul_lo_u32 v31, v7, s3
	s_delay_alu instid0(VALU_DEP_2) | instskip(NEXT) | instid1(VALU_DEP_1)
	v_mul_lo_u32 v7, v30, s2
	v_add3_u32 v6, v6, v31, v7
	s_delay_alu instid0(VALU_DEP_1) | instskip(NEXT) | instid1(VALU_DEP_1)
	v_lshlrev_b64 v[5:6], 4, v[5:6]
	v_add_co_u32 v5, s1, v41, v5
	s_delay_alu instid0(VALU_DEP_1)
	v_add_co_ci_u32_e64 v6, s1, v42, v6, s1
	global_load_b128 v[51:54], v[5:6], off
	ds_load_b128 v[55:58], v0
	ds_load_b128 v[59:62], v0 offset:16
	s_waitcnt vmcnt(3) lgkmcnt(1)
	v_fma_f64 v[5:6], v[55:56], v[1:2], v[26:27]
	v_fma_f64 v[1:2], v[57:58], v[1:2], v[24:25]
	s_delay_alu instid0(VALU_DEP_2) | instskip(NEXT) | instid1(VALU_DEP_2)
	v_fma_f64 v[5:6], -v[57:58], v[3:4], v[5:6]
	v_fma_f64 v[1:2], v[55:56], v[3:4], v[1:2]
	s_waitcnt vmcnt(2) lgkmcnt(0)
	s_delay_alu instid0(VALU_DEP_2) | instskip(NEXT) | instid1(VALU_DEP_2)
	v_fma_f64 v[3:4], v[59:60], v[43:44], v[5:6]
	v_fma_f64 v[1:2], v[61:62], v[43:44], v[1:2]
	s_delay_alu instid0(VALU_DEP_2) | instskip(NEXT) | instid1(VALU_DEP_2)
	v_fma_f64 v[5:6], -v[61:62], v[45:46], v[3:4]
	v_fma_f64 v[30:31], v[59:60], v[45:46], v[1:2]
	ds_load_b128 v[1:4], v0 offset:48
	ds_load_b128 v[24:27], v0 offset:64
	v_add_nc_u32_e32 v0, 0x60, v0
	s_waitcnt vmcnt(1) lgkmcnt(1)
	v_fma_f64 v[5:6], v[1:2], v[47:48], v[5:6]
	v_fma_f64 v[30:31], v[3:4], v[47:48], v[30:31]
	s_delay_alu instid0(VALU_DEP_2) | instskip(NEXT) | instid1(VALU_DEP_2)
	v_fma_f64 v[3:4], -v[3:4], v[49:50], v[5:6]
	v_fma_f64 v[1:2], v[1:2], v[49:50], v[30:31]
	s_waitcnt vmcnt(0) lgkmcnt(0)
	s_delay_alu instid0(VALU_DEP_2) | instskip(NEXT) | instid1(VALU_DEP_2)
	v_fma_f64 v[3:4], v[24:25], v[51:52], v[3:4]
	v_fma_f64 v[1:2], v[26:27], v[51:52], v[1:2]
	s_delay_alu instid0(VALU_DEP_2) | instskip(NEXT) | instid1(VALU_DEP_2)
	v_fma_f64 v[26:27], -v[26:27], v[53:54], v[3:4]
	v_fma_f64 v[24:25], v[24:25], v[53:54], v[1:2]
	s_cbranch_scc1 .LBB61_20
	s_branch .LBB61_13
.LBB61_21:                              ;   in Loop: Header=BB61_11 Depth=1
	s_or_b32 exec_lo, exec_lo, s20
.LBB61_22:                              ;   in Loop: Header=BB61_11 Depth=1
	s_delay_alu instid0(SALU_CYCLE_1) | instskip(NEXT) | instid1(SALU_CYCLE_1)
	s_or_b32 exec_lo, exec_lo, s19
	s_mov_b32 s1, exec_lo
	v_cmpx_gt_i32_e64 s22, v22
	s_cbranch_execz .LBB61_10
; %bb.23:                               ;   in Loop: Header=BB61_11 Depth=1
	s_and_saveexec_b32 s4, s18
	s_delay_alu instid0(SALU_CYCLE_1)
	s_xor_b32 s4, exec_lo, s4
	s_cbranch_execz .LBB61_28
; %bb.24:                               ;   in Loop: Header=BB61_11 Depth=1
	s_and_b32 vcc_lo, exec_lo, s16
	s_mov_b32 s5, -1
	s_cbranch_vccz .LBB61_26
; %bb.25:                               ;   in Loop: Header=BB61_11 Depth=1
	v_lshlrev_b64 v[0:1], 4, v[22:23]
	v_mul_f64 v[6:7], v[24:25], -v[10:11]
	v_mul_f64 v[28:29], v[8:9], v[24:25]
	s_mov_b32 s5, 0
	s_delay_alu instid0(VALU_DEP_3) | instskip(NEXT) | instid1(VALU_DEP_4)
	v_add_co_u32 v4, vcc_lo, v36, v0
	v_add_co_ci_u32_e32 v5, vcc_lo, v37, v1, vcc_lo
	global_load_b128 v[0:3], v[4:5], off
	v_fma_f64 v[6:7], v[8:9], v[26:27], v[6:7]
	v_fma_f64 v[28:29], v[10:11], v[26:27], v[28:29]
	s_waitcnt vmcnt(0)
	s_delay_alu instid0(VALU_DEP_2) | instskip(NEXT) | instid1(VALU_DEP_2)
	v_fma_f64 v[6:7], v[12:13], v[0:1], v[6:7]
	v_fma_f64 v[28:29], v[14:15], v[0:1], v[28:29]
	s_delay_alu instid0(VALU_DEP_2) | instskip(NEXT) | instid1(VALU_DEP_2)
	v_fma_f64 v[0:1], -v[14:15], v[2:3], v[6:7]
	v_fma_f64 v[2:3], v[12:13], v[2:3], v[28:29]
	global_store_b128 v[4:5], v[0:3], off
.LBB61_26:                              ;   in Loop: Header=BB61_11 Depth=1
	s_and_not1_b32 vcc_lo, exec_lo, s5
	s_cbranch_vccnz .LBB61_28
; %bb.27:                               ;   in Loop: Header=BB61_11 Depth=1
	v_mul_lo_u32 v2, v23, s14
	v_mul_lo_u32 v3, v22, s15
	v_mad_u64_u32 v[0:1], null, v22, s14, 0
	v_mul_f64 v[6:7], v[24:25], -v[10:11]
	v_mul_f64 v[22:23], v[8:9], v[24:25]
                                        ; implicit-def: $vgpr24_vgpr25
	s_delay_alu instid0(VALU_DEP_3) | instskip(NEXT) | instid1(VALU_DEP_1)
	v_add3_u32 v1, v1, v3, v2
	v_lshlrev_b64 v[0:1], 4, v[0:1]
	s_delay_alu instid0(VALU_DEP_1) | instskip(NEXT) | instid1(VALU_DEP_2)
	v_add_co_u32 v4, vcc_lo, v38, v0
	v_add_co_ci_u32_e32 v5, vcc_lo, v39, v1, vcc_lo
	global_load_b128 v[0:3], v[4:5], off
	v_fma_f64 v[6:7], v[8:9], v[26:27], v[6:7]
	v_fma_f64 v[22:23], v[10:11], v[26:27], v[22:23]
                                        ; implicit-def: $vgpr26_vgpr27
	s_waitcnt vmcnt(0)
	s_delay_alu instid0(VALU_DEP_2) | instskip(NEXT) | instid1(VALU_DEP_2)
	v_fma_f64 v[6:7], v[12:13], v[0:1], v[6:7]
	v_fma_f64 v[22:23], v[14:15], v[0:1], v[22:23]
	s_delay_alu instid0(VALU_DEP_2) | instskip(NEXT) | instid1(VALU_DEP_2)
	v_fma_f64 v[0:1], -v[14:15], v[2:3], v[6:7]
	v_fma_f64 v[2:3], v[12:13], v[2:3], v[22:23]
                                        ; implicit-def: $vgpr22
	global_store_b128 v[4:5], v[0:3], off
.LBB61_28:                              ;   in Loop: Header=BB61_11 Depth=1
	s_and_not1_saveexec_b32 s4, s4
	s_cbranch_execz .LBB61_10
; %bb.29:                               ;   in Loop: Header=BB61_11 Depth=1
	v_mul_f64 v[0:1], v[24:25], -v[10:11]
	v_mul_f64 v[2:3], v[8:9], v[24:25]
	s_and_b32 vcc_lo, exec_lo, s16
	s_mov_b32 s4, -1
	s_delay_alu instid0(VALU_DEP_2) | instskip(NEXT) | instid1(VALU_DEP_2)
	v_fma_f64 v[0:1], v[8:9], v[26:27], v[0:1]
	v_fma_f64 v[2:3], v[10:11], v[26:27], v[2:3]
	s_cbranch_vccz .LBB61_31
; %bb.30:                               ;   in Loop: Header=BB61_11 Depth=1
	v_lshlrev_b64 v[4:5], 4, v[22:23]
	s_mov_b32 s4, 0
	s_delay_alu instid0(VALU_DEP_1) | instskip(NEXT) | instid1(VALU_DEP_2)
	v_add_co_u32 v4, vcc_lo, v36, v4
	v_add_co_ci_u32_e32 v5, vcc_lo, v37, v5, vcc_lo
	global_store_b128 v[4:5], v[0:3], off
.LBB61_31:                              ;   in Loop: Header=BB61_11 Depth=1
	s_and_not1_b32 vcc_lo, exec_lo, s4
	s_cbranch_vccnz .LBB61_10
; %bb.32:                               ;   in Loop: Header=BB61_11 Depth=1
	v_mul_lo_u32 v6, v23, s14
	v_mul_lo_u32 v7, v22, s15
	v_mad_u64_u32 v[4:5], null, v22, s14, 0
	s_delay_alu instid0(VALU_DEP_1) | instskip(NEXT) | instid1(VALU_DEP_1)
	v_add3_u32 v5, v5, v7, v6
	v_lshlrev_b64 v[4:5], 4, v[4:5]
	s_delay_alu instid0(VALU_DEP_1) | instskip(NEXT) | instid1(VALU_DEP_2)
	v_add_co_u32 v4, vcc_lo, v38, v4
	v_add_co_ci_u32_e32 v5, vcc_lo, v39, v5, vcc_lo
	global_store_b128 v[4:5], v[0:3], off
	s_branch .LBB61_10
.LBB61_33:
	s_endpgm
	.section	.rodata,"a",@progbits
	.p2align	6, 0x0
	.amdhsa_kernel _ZN9rocsparseL29bsrmmnt_small_blockdim_kernelILj64ELj8ELj2Eli21rocsparse_complex_numIdES2_S2_S2_EEv20rocsparse_direction_T3_S4_llNS_24const_host_device_scalarIT7_EEPKT2_PKS4_PKT4_PKT5_llS7_PT6_ll16rocsparse_order_21rocsparse_index_base_b
		.amdhsa_group_segment_fixed_size 3840
		.amdhsa_private_segment_fixed_size 16
		.amdhsa_kernarg_size 408
		.amdhsa_user_sgpr_count 15
		.amdhsa_user_sgpr_dispatch_ptr 1
		.amdhsa_user_sgpr_queue_ptr 0
		.amdhsa_user_sgpr_kernarg_segment_ptr 1
		.amdhsa_user_sgpr_dispatch_id 0
		.amdhsa_user_sgpr_private_segment_size 0
		.amdhsa_wavefront_size32 1
		.amdhsa_uses_dynamic_stack 0
		.amdhsa_enable_private_segment 1
		.amdhsa_system_sgpr_workgroup_id_x 1
		.amdhsa_system_sgpr_workgroup_id_y 0
		.amdhsa_system_sgpr_workgroup_id_z 0
		.amdhsa_system_sgpr_workgroup_info 0
		.amdhsa_system_vgpr_workitem_id 2
		.amdhsa_next_free_vgpr 63
		.amdhsa_next_free_sgpr 24
		.amdhsa_reserve_vcc 1
		.amdhsa_float_round_mode_32 0
		.amdhsa_float_round_mode_16_64 0
		.amdhsa_float_denorm_mode_32 3
		.amdhsa_float_denorm_mode_16_64 3
		.amdhsa_dx10_clamp 1
		.amdhsa_ieee_mode 1
		.amdhsa_fp16_overflow 0
		.amdhsa_workgroup_processor_mode 1
		.amdhsa_memory_ordered 1
		.amdhsa_forward_progress 0
		.amdhsa_shared_vgpr_count 0
		.amdhsa_exception_fp_ieee_invalid_op 0
		.amdhsa_exception_fp_denorm_src 0
		.amdhsa_exception_fp_ieee_div_zero 0
		.amdhsa_exception_fp_ieee_overflow 0
		.amdhsa_exception_fp_ieee_underflow 0
		.amdhsa_exception_fp_ieee_inexact 0
		.amdhsa_exception_int_div_zero 0
	.end_amdhsa_kernel
	.section	.text._ZN9rocsparseL29bsrmmnt_small_blockdim_kernelILj64ELj8ELj2Eli21rocsparse_complex_numIdES2_S2_S2_EEv20rocsparse_direction_T3_S4_llNS_24const_host_device_scalarIT7_EEPKT2_PKS4_PKT4_PKT5_llS7_PT6_ll16rocsparse_order_21rocsparse_index_base_b,"axG",@progbits,_ZN9rocsparseL29bsrmmnt_small_blockdim_kernelILj64ELj8ELj2Eli21rocsparse_complex_numIdES2_S2_S2_EEv20rocsparse_direction_T3_S4_llNS_24const_host_device_scalarIT7_EEPKT2_PKS4_PKT4_PKT5_llS7_PT6_ll16rocsparse_order_21rocsparse_index_base_b,comdat
.Lfunc_end61:
	.size	_ZN9rocsparseL29bsrmmnt_small_blockdim_kernelILj64ELj8ELj2Eli21rocsparse_complex_numIdES2_S2_S2_EEv20rocsparse_direction_T3_S4_llNS_24const_host_device_scalarIT7_EEPKT2_PKS4_PKT4_PKT5_llS7_PT6_ll16rocsparse_order_21rocsparse_index_base_b, .Lfunc_end61-_ZN9rocsparseL29bsrmmnt_small_blockdim_kernelILj64ELj8ELj2Eli21rocsparse_complex_numIdES2_S2_S2_EEv20rocsparse_direction_T3_S4_llNS_24const_host_device_scalarIT7_EEPKT2_PKS4_PKT4_PKT5_llS7_PT6_ll16rocsparse_order_21rocsparse_index_base_b
                                        ; -- End function
	.section	.AMDGPU.csdata,"",@progbits
; Kernel info:
; codeLenInByte = 2284
; NumSgprs: 26
; NumVgprs: 63
; ScratchSize: 16
; MemoryBound: 1
; FloatMode: 240
; IeeeMode: 1
; LDSByteSize: 3840 bytes/workgroup (compile time only)
; SGPRBlocks: 3
; VGPRBlocks: 7
; NumSGPRsForWavesPerEU: 26
; NumVGPRsForWavesPerEU: 63
; Occupancy: 16
; WaveLimiterHint : 0
; COMPUTE_PGM_RSRC2:SCRATCH_EN: 1
; COMPUTE_PGM_RSRC2:USER_SGPR: 15
; COMPUTE_PGM_RSRC2:TRAP_HANDLER: 0
; COMPUTE_PGM_RSRC2:TGID_X_EN: 1
; COMPUTE_PGM_RSRC2:TGID_Y_EN: 0
; COMPUTE_PGM_RSRC2:TGID_Z_EN: 0
; COMPUTE_PGM_RSRC2:TIDIG_COMP_CNT: 2
	.section	.text._ZN9rocsparseL29bsrmmnt_small_blockdim_kernelILj64ELj16ELj2Eli21rocsparse_complex_numIdES2_S2_S2_EEv20rocsparse_direction_T3_S4_llNS_24const_host_device_scalarIT7_EEPKT2_PKS4_PKT4_PKT5_llS7_PT6_ll16rocsparse_order_21rocsparse_index_base_b,"axG",@progbits,_ZN9rocsparseL29bsrmmnt_small_blockdim_kernelILj64ELj16ELj2Eli21rocsparse_complex_numIdES2_S2_S2_EEv20rocsparse_direction_T3_S4_llNS_24const_host_device_scalarIT7_EEPKT2_PKS4_PKT4_PKT5_llS7_PT6_ll16rocsparse_order_21rocsparse_index_base_b,comdat
	.globl	_ZN9rocsparseL29bsrmmnt_small_blockdim_kernelILj64ELj16ELj2Eli21rocsparse_complex_numIdES2_S2_S2_EEv20rocsparse_direction_T3_S4_llNS_24const_host_device_scalarIT7_EEPKT2_PKS4_PKT4_PKT5_llS7_PT6_ll16rocsparse_order_21rocsparse_index_base_b ; -- Begin function _ZN9rocsparseL29bsrmmnt_small_blockdim_kernelILj64ELj16ELj2Eli21rocsparse_complex_numIdES2_S2_S2_EEv20rocsparse_direction_T3_S4_llNS_24const_host_device_scalarIT7_EEPKT2_PKS4_PKT4_PKT5_llS7_PT6_ll16rocsparse_order_21rocsparse_index_base_b
	.p2align	8
	.type	_ZN9rocsparseL29bsrmmnt_small_blockdim_kernelILj64ELj16ELj2Eli21rocsparse_complex_numIdES2_S2_S2_EEv20rocsparse_direction_T3_S4_llNS_24const_host_device_scalarIT7_EEPKT2_PKS4_PKT4_PKT5_llS7_PT6_ll16rocsparse_order_21rocsparse_index_base_b,@function
_ZN9rocsparseL29bsrmmnt_small_blockdim_kernelILj64ELj16ELj2Eli21rocsparse_complex_numIdES2_S2_S2_EEv20rocsparse_direction_T3_S4_llNS_24const_host_device_scalarIT7_EEPKT2_PKS4_PKT4_PKT5_llS7_PT6_ll16rocsparse_order_21rocsparse_index_base_b: ; @_ZN9rocsparseL29bsrmmnt_small_blockdim_kernelILj64ELj16ELj2Eli21rocsparse_complex_numIdES2_S2_S2_EEv20rocsparse_direction_T3_S4_llNS_24const_host_device_scalarIT7_EEPKT2_PKS4_PKT4_PKT5_llS7_PT6_ll16rocsparse_order_21rocsparse_index_base_b
; %bb.0:
	s_load_b128 s[16:19], s[2:3], 0x88
	s_load_b64 s[12:13], s[0:1], 0x4
	s_load_b128 s[8:11], s[2:3], 0x20
	v_bfe_u32 v2, v0, 10, 10
	s_mov_b64 s[0:1], src_shared_base
	s_load_b128 s[4:7], s[2:3], 0x60
	v_and_b32_e32 v1, 0x3ff, v0
	v_bfe_u32 v0, v0, 20, 10
	s_waitcnt lgkmcnt(0)
	s_bitcmp1_b32 s18, 0
	v_mul_u32_u24_e32 v2, s13, v2
	s_cselect_b32 s0, -1, 0
	v_mov_b32_e32 v10, s10
	s_and_b32 vcc_lo, s0, exec_lo
	s_cselect_b32 s1, s1, s9
	s_lshr_b32 s12, s12, 16
	v_dual_mov_b32 v4, s4 :: v_dual_mov_b32 v5, s5
	s_mul_i32 s12, s12, s13
	v_mov_b32_e32 v7, s1
	v_mad_u32_u24 v2, s12, v1, v2
	v_mov_b32_e32 v11, s11
	scratch_store_b64 off, v[4:5], off
	s_xor_b32 s1, s0, -1
	v_add_lshl_u32 v0, v2, v0, 3
	v_dual_mov_b32 v2, s8 :: v_dual_mov_b32 v3, s9
	s_delay_alu instid0(VALU_DEP_2)
	v_add_nc_u32_e32 v6, 0xd00, v0
	ds_store_b64 v0, v[2:3] offset:3328
	v_cndmask_b32_e64 v6, s8, v6, s0
	flat_load_b64 v[8:9], v[6:7]
	s_cbranch_vccnz .LBB62_2
; %bb.1:
	v_dual_mov_b32 v2, s8 :: v_dual_mov_b32 v3, s9
	flat_load_b64 v[10:11], v[2:3] offset:8
.LBB62_2:
	s_mov_b64 s[8:9], src_private_base
	s_and_b32 s8, s0, exec_lo
	s_cselect_b32 s8, s9, s5
	s_delay_alu instid0(SALU_CYCLE_1) | instskip(SKIP_2) | instid1(VALU_DEP_2)
	v_dual_mov_b32 v0, 0 :: v_dual_mov_b32 v3, s8
	v_dual_mov_b32 v15, s7 :: v_dual_mov_b32 v14, s6
	s_and_not1_b32 vcc_lo, exec_lo, s1
	v_cndmask_b32_e64 v2, s4, v0, s0
	flat_load_b64 v[12:13], v[2:3]
	s_cbranch_vccnz .LBB62_4
; %bb.3:
	v_dual_mov_b32 v2, s4 :: v_dual_mov_b32 v3, s5
	flat_load_b64 v[14:15], v[2:3] offset:8
.LBB62_4:
	s_waitcnt vmcnt(1) lgkmcnt(1)
	v_cmp_eq_f64_e32 vcc_lo, 0, v[8:9]
	v_cmp_eq_f64_e64 s0, 0, v[10:11]
	s_delay_alu instid0(VALU_DEP_1)
	s_and_b32 s4, vcc_lo, s0
	s_mov_b32 s0, -1
	s_and_saveexec_b32 s1, s4
	s_cbranch_execz .LBB62_6
; %bb.5:
	s_waitcnt vmcnt(0) lgkmcnt(0)
	v_cmp_neq_f64_e32 vcc_lo, 1.0, v[12:13]
	v_cmp_neq_f64_e64 s0, 0, v[14:15]
	s_delay_alu instid0(VALU_DEP_1) | instskip(NEXT) | instid1(SALU_CYCLE_1)
	s_or_b32 s0, vcc_lo, s0
	s_or_not1_b32 s0, s0, exec_lo
.LBB62_6:
	s_or_b32 exec_lo, exec_lo, s1
	s_and_saveexec_b32 s1, s0
	s_cbranch_execz .LBB62_33
; %bb.7:
	s_clause 0x1
	s_load_b32 s0, s[2:3], 0xa4
	s_load_b128 s[20:23], s[2:3], 0x0
	s_waitcnt lgkmcnt(0)
	s_and_b32 s0, s0, 0xffff
	s_delay_alu instid0(SALU_CYCLE_1) | instskip(NEXT) | instid1(VALU_DEP_1)
	v_mad_u64_u32 v[2:3], null, s15, s0, v[1:2]
	v_lshrrev_b32_e32 v0, 5, v2
	s_delay_alu instid0(VALU_DEP_1)
	v_cmp_gt_i32_e32 vcc_lo, s21, v0
	s_and_b32 exec_lo, exec_lo, vcc_lo
	s_cbranch_execz .LBB62_33
; %bb.8:
	s_cmp_lt_i32 s22, 1
	s_cbranch_scc1 .LBB62_33
; %bb.9:
	s_load_b256 s[4:11], s[2:3], 0x30
	v_dual_mov_b32 v31, 0 :: v_dual_lshlrev_b32 v0, 3, v0
	s_load_b128 s[12:15], s[2:3], 0x70
	s_waitcnt vmcnt(0)
	v_cmp_neq_f64_e32 vcc_lo, 0, v[12:13]
	v_cmp_neq_f64_e64 s0, 0, v[14:15]
	v_lshrrev_b32_e32 v7, 4, v2
	v_and_b32_e32 v30, 15, v1
	s_load_b64 s[2:3], s[2:3], 0x50
	v_lshrrev_b32_e32 v19, 4, v1
	s_delay_alu instid0(VALU_DEP_1) | instskip(SKIP_1) | instid1(VALU_DEP_2)
	v_lshl_or_b32 v32, v19, 6, 0xc00
	v_mul_u32_u24_e32 v33, 0x300, v19
	v_lshl_or_b32 v34, v30, 2, v32
	s_waitcnt lgkmcnt(0)
	global_load_b128 v[3:6], v0, s[4:5]
	v_mad_u64_u32 v[16:17], null, v7, s14, 0
	s_delay_alu instid0(VALU_DEP_1) | instskip(NEXT) | instid1(VALU_DEP_1)
	v_mov_b32_e32 v0, v17
	v_mad_u64_u32 v[17:18], null, v7, s15, v[0:1]
	v_mul_u32_u24_e32 v0, 3, v30
	v_bfe_u32 v7, v2, 4, 1
	v_and_b32_e32 v2, -16, v2
	s_delay_alu instid0(VALU_DEP_3)
	v_lshlrev_b32_e32 v18, 4, v0
	v_lshlrev_b64 v[0:1], 4, v[16:17]
	s_or_b32 s18, vcc_lo, s0
	s_cmp_lg_u32 s16, 1
	v_add_co_u32 v38, s4, s12, v2
	s_cselect_b32 s16, -1, 0
	s_cmp_eq_u32 s20, 0
	v_add_co_u32 v36, vcc_lo, s12, v0
	s_cselect_b32 s1, -1, 0
	v_add_co_ci_u32_e32 v37, vcc_lo, s13, v1, vcc_lo
	v_cndmask_b32_e64 v20, 0, 1, s1
	v_mad_u32_u24 v35, 0x300, v19, v18
	v_add_co_ci_u32_e64 v39, null, s13, 0, s4
	s_and_b32 s1, s1, exec_lo
	s_delay_alu instid0(VALU_DEP_3)
	v_lshlrev_b32_e32 v40, v20, v7
	s_mov_b32 s12, 0
	s_cselect_b32 s13, 1, 2
	s_waitcnt vmcnt(0)
	v_sub_co_u32 v16, vcc_lo, v3, s17
	v_subrev_co_ci_u32_e32 v17, vcc_lo, 0, v4, vcc_lo
	v_sub_co_u32 v18, vcc_lo, v5, s17
	v_cmp_lt_i64_e64 s0, v[3:4], v[5:6]
	v_subrev_co_ci_u32_e32 v19, vcc_lo, 0, v6, vcc_lo
	s_branch .LBB62_11
.LBB62_10:                              ;   in Loop: Header=BB62_11 Depth=1
	s_or_b32 exec_lo, exec_lo, s1
	s_add_i32 s12, s12, 16
	s_delay_alu instid0(SALU_CYCLE_1)
	s_cmp_lt_i32 s12, s22
	s_cbranch_scc0 .LBB62_33
.LBB62_11:                              ; =>This Loop Header: Depth=1
                                        ;     Child Loop BB62_14 Depth 2
                                        ;       Child Loop BB62_20 Depth 3
	v_mov_b32_e32 v22, 0
	v_or_b32_e32 v20, s12, v30
	v_mov_b32_e32 v23, 0
	s_delay_alu instid0(VALU_DEP_2) | instskip(NEXT) | instid1(VALU_DEP_2)
	v_ashrrev_i32_e32 v21, 31, v20
	v_dual_mov_b32 v25, v23 :: v_dual_mov_b32 v24, v22
	s_and_saveexec_b32 s19, s0
	s_cbranch_execz .LBB62_22
; %bb.12:                               ;   in Loop: Header=BB62_11 Depth=1
	s_delay_alu instid0(VALU_DEP_2) | instskip(SKIP_3) | instid1(VALU_DEP_4)
	v_lshlrev_b64 v[0:1], 4, v[20:21]
	v_dual_mov_b32 v22, 0 :: v_dual_mov_b32 v27, v17
	v_dual_mov_b32 v23, 0 :: v_dual_mov_b32 v26, v16
	v_cmp_gt_i32_e32 vcc_lo, s22, v20
	v_add_co_u32 v41, s1, s10, v0
	s_delay_alu instid0(VALU_DEP_1) | instskip(NEXT) | instid1(VALU_DEP_4)
	v_add_co_ci_u32_e64 v42, s1, s11, v1, s1
	v_dual_mov_b32 v25, v23 :: v_dual_mov_b32 v24, v22
	s_mov_b32 s20, 0
	s_branch .LBB62_14
.LBB62_13:                              ;   in Loop: Header=BB62_14 Depth=2
	s_or_b32 exec_lo, exec_lo, s4
	v_add_co_u32 v26, s1, v26, 16
	s_delay_alu instid0(VALU_DEP_1) | instskip(NEXT) | instid1(VALU_DEP_1)
	v_add_co_ci_u32_e64 v27, s1, 0, v27, s1
	v_cmp_ge_i64_e64 s1, v[26:27], v[18:19]
	s_delay_alu instid0(VALU_DEP_1) | instskip(NEXT) | instid1(SALU_CYCLE_1)
	s_or_b32 s20, s1, s20
	s_and_not1_b32 exec_lo, exec_lo, s20
	s_cbranch_execz .LBB62_21
.LBB62_14:                              ;   Parent Loop BB62_11 Depth=1
                                        ; =>  This Loop Header: Depth=2
                                        ;       Child Loop BB62_20 Depth 3
	v_add_co_u32 v28, s1, v26, v30
	s_delay_alu instid0(VALU_DEP_1) | instskip(NEXT) | instid1(VALU_DEP_1)
	v_add_co_ci_u32_e64 v29, s1, 0, v27, s1
                                        ; implicit-def: $sgpr4_sgpr5
	v_cmp_ge_i64_e64 s1, v[28:29], v[18:19]
	s_delay_alu instid0(VALU_DEP_1) | instskip(NEXT) | instid1(SALU_CYCLE_1)
	s_and_saveexec_b32 s21, s1
	s_xor_b32 s1, exec_lo, s21
	s_cbranch_execz .LBB62_16
; %bb.15:                               ;   in Loop: Header=BB62_14 Depth=2
	s_mov_b64 s[4:5], 0
	ds_store_b32 v34, v31
                                        ; implicit-def: $vgpr28_vgpr29
.LBB62_16:                              ;   in Loop: Header=BB62_14 Depth=2
	s_or_saveexec_b32 s21, s1
	v_dual_mov_b32 v4, s4 :: v_dual_mov_b32 v5, s5
	v_dual_mov_b32 v7, s5 :: v_dual_mov_b32 v6, s4
	;; [unrolled: 1-line block ×4, first 2 shown]
	s_xor_b32 exec_lo, exec_lo, s21
	s_cbranch_execz .LBB62_18
; %bb.17:                               ;   in Loop: Header=BB62_14 Depth=2
	v_lshlrev_b64 v[0:1], 2, v[28:29]
	s_delay_alu instid0(VALU_DEP_1) | instskip(NEXT) | instid1(VALU_DEP_2)
	v_or_b32_e32 v3, 0, v1
	v_or_b32_e32 v2, v0, v40
	v_add_co_u32 v0, s1, s6, v0
	s_delay_alu instid0(VALU_DEP_1) | instskip(NEXT) | instid1(VALU_DEP_4)
	v_add_co_ci_u32_e64 v1, s1, s7, v1, s1
	v_or_b32_e32 v5, 0, v3
	s_delay_alu instid0(VALU_DEP_4) | instskip(SKIP_4) | instid1(VALU_DEP_1)
	v_or_b32_e32 v4, s13, v2
	v_lshlrev_b64 v[2:3], 4, v[2:3]
	global_load_b32 v28, v[0:1], off
	v_lshlrev_b64 v[0:1], 4, v[4:5]
	v_add_co_u32 v2, s1, s8, v2
	v_add_co_ci_u32_e64 v3, s1, s9, v3, s1
	s_delay_alu instid0(VALU_DEP_3) | instskip(NEXT) | instid1(VALU_DEP_1)
	v_add_co_u32 v0, s1, s8, v0
	v_add_co_ci_u32_e64 v1, s1, s9, v1, s1
	s_clause 0x1
	global_load_b128 v[4:7], v[2:3], off
	global_load_b128 v[0:3], v[0:1], off
	s_waitcnt vmcnt(2)
	v_subrev_nc_u32_e32 v28, s17, v28
	s_delay_alu instid0(VALU_DEP_1)
	v_lshlrev_b32_e32 v28, 1, v28
	ds_store_b32 v34, v28
.LBB62_18:                              ;   in Loop: Header=BB62_14 Depth=2
	s_or_b32 exec_lo, exec_lo, s21
	s_waitcnt vmcnt(1)
	ds_store_b128 v35, v[4:7]
	s_waitcnt vmcnt(0)
	ds_store_b128 v35, v[0:3] offset:16
	s_waitcnt lgkmcnt(0)
	s_waitcnt_vscnt null, 0x0
	s_barrier
	buffer_gl0_inv
	s_and_saveexec_b32 s4, vcc_lo
	s_cbranch_execz .LBB62_13
; %bb.19:                               ;   in Loop: Header=BB62_14 Depth=2
	v_mov_b32_e32 v0, v33
	s_mov_b32 s5, 0
.LBB62_20:                              ;   Parent Loop BB62_11 Depth=1
                                        ;     Parent Loop BB62_14 Depth=2
                                        ; =>    This Inner Loop Header: Depth=3
	s_delay_alu instid0(SALU_CYCLE_1) | instskip(SKIP_1) | instid1(SALU_CYCLE_1)
	v_add_nc_u32_e32 v1, s5, v32
	s_add_i32 s5, s5, 8
	s_cmp_lg_u32 s5, 64
	ds_load_b64 v[5:6], v1
	s_waitcnt lgkmcnt(0)
	v_ashrrev_i32_e32 v3, 31, v5
	v_mul_lo_u32 v4, v5, s3
	v_mad_u64_u32 v[1:2], null, v5, s2, 0
	v_add_nc_u32_e32 v5, 1, v5
	s_delay_alu instid0(VALU_DEP_4) | instskip(NEXT) | instid1(VALU_DEP_2)
	v_mul_lo_u32 v3, v3, s2
	v_ashrrev_i32_e32 v7, 31, v5
	v_mul_lo_u32 v43, v5, s3
	v_mad_u64_u32 v[28:29], null, v5, s2, 0
	s_delay_alu instid0(VALU_DEP_4) | instskip(NEXT) | instid1(VALU_DEP_4)
	v_add3_u32 v2, v2, v4, v3
	v_mul_lo_u32 v5, v7, s2
	v_mul_lo_u32 v7, v6, s3
	s_delay_alu instid0(VALU_DEP_3) | instskip(NEXT) | instid1(VALU_DEP_3)
	v_lshlrev_b64 v[1:2], 4, v[1:2]
	v_add3_u32 v29, v29, v43, v5
	v_ashrrev_i32_e32 v5, 31, v6
	s_delay_alu instid0(VALU_DEP_3) | instskip(NEXT) | instid1(VALU_DEP_1)
	v_add_co_u32 v1, s1, v41, v1
	v_add_co_ci_u32_e64 v2, s1, v42, v2, s1
	s_delay_alu instid0(VALU_DEP_4) | instskip(NEXT) | instid1(VALU_DEP_4)
	v_lshlrev_b64 v[28:29], 4, v[28:29]
	v_mul_lo_u32 v5, v5, s2
	global_load_b128 v[1:4], v[1:2], off
	v_add_co_u32 v28, s1, v41, v28
	s_delay_alu instid0(VALU_DEP_1) | instskip(SKIP_2) | instid1(VALU_DEP_1)
	v_add_co_ci_u32_e64 v29, s1, v42, v29, s1
	global_load_b128 v[43:46], v[28:29], off
	v_mad_u64_u32 v[28:29], null, v6, s2, 0
	v_add3_u32 v29, v29, v7, v5
	v_add_nc_u32_e32 v7, 1, v6
	s_delay_alu instid0(VALU_DEP_2) | instskip(NEXT) | instid1(VALU_DEP_2)
	v_lshlrev_b64 v[28:29], 4, v[28:29]
	v_mad_u64_u32 v[5:6], null, v7, s2, 0
	s_delay_alu instid0(VALU_DEP_2) | instskip(NEXT) | instid1(VALU_DEP_1)
	v_add_co_u32 v28, s1, v41, v28
	v_add_co_ci_u32_e64 v29, s1, v42, v29, s1
	global_load_b128 v[47:50], v[28:29], off
	v_ashrrev_i32_e32 v28, 31, v7
	v_mul_lo_u32 v29, v7, s3
	s_delay_alu instid0(VALU_DEP_2) | instskip(NEXT) | instid1(VALU_DEP_1)
	v_mul_lo_u32 v7, v28, s2
	v_add3_u32 v6, v6, v29, v7
	s_delay_alu instid0(VALU_DEP_1) | instskip(NEXT) | instid1(VALU_DEP_1)
	v_lshlrev_b64 v[5:6], 4, v[5:6]
	v_add_co_u32 v5, s1, v41, v5
	s_delay_alu instid0(VALU_DEP_1)
	v_add_co_ci_u32_e64 v6, s1, v42, v6, s1
	global_load_b128 v[51:54], v[5:6], off
	ds_load_b128 v[55:58], v0
	ds_load_b128 v[59:62], v0 offset:16
	s_waitcnt vmcnt(3) lgkmcnt(1)
	v_fma_f64 v[5:6], v[55:56], v[1:2], v[24:25]
	v_fma_f64 v[1:2], v[57:58], v[1:2], v[22:23]
	s_delay_alu instid0(VALU_DEP_2) | instskip(NEXT) | instid1(VALU_DEP_2)
	v_fma_f64 v[5:6], -v[57:58], v[3:4], v[5:6]
	v_fma_f64 v[1:2], v[55:56], v[3:4], v[1:2]
	s_waitcnt vmcnt(2) lgkmcnt(0)
	s_delay_alu instid0(VALU_DEP_2) | instskip(NEXT) | instid1(VALU_DEP_2)
	v_fma_f64 v[3:4], v[59:60], v[43:44], v[5:6]
	v_fma_f64 v[1:2], v[61:62], v[43:44], v[1:2]
	s_delay_alu instid0(VALU_DEP_2) | instskip(NEXT) | instid1(VALU_DEP_2)
	v_fma_f64 v[5:6], -v[61:62], v[45:46], v[3:4]
	v_fma_f64 v[28:29], v[59:60], v[45:46], v[1:2]
	ds_load_b128 v[1:4], v0 offset:48
	ds_load_b128 v[22:25], v0 offset:64
	v_add_nc_u32_e32 v0, 0x60, v0
	s_waitcnt vmcnt(1) lgkmcnt(1)
	v_fma_f64 v[5:6], v[1:2], v[47:48], v[5:6]
	v_fma_f64 v[28:29], v[3:4], v[47:48], v[28:29]
	s_delay_alu instid0(VALU_DEP_2) | instskip(NEXT) | instid1(VALU_DEP_2)
	v_fma_f64 v[3:4], -v[3:4], v[49:50], v[5:6]
	v_fma_f64 v[1:2], v[1:2], v[49:50], v[28:29]
	s_waitcnt vmcnt(0) lgkmcnt(0)
	s_delay_alu instid0(VALU_DEP_2) | instskip(NEXT) | instid1(VALU_DEP_2)
	v_fma_f64 v[3:4], v[22:23], v[51:52], v[3:4]
	v_fma_f64 v[1:2], v[24:25], v[51:52], v[1:2]
	s_delay_alu instid0(VALU_DEP_2) | instskip(NEXT) | instid1(VALU_DEP_2)
	v_fma_f64 v[24:25], -v[24:25], v[53:54], v[3:4]
	v_fma_f64 v[22:23], v[22:23], v[53:54], v[1:2]
	s_cbranch_scc1 .LBB62_20
	s_branch .LBB62_13
.LBB62_21:                              ;   in Loop: Header=BB62_11 Depth=1
	s_or_b32 exec_lo, exec_lo, s20
.LBB62_22:                              ;   in Loop: Header=BB62_11 Depth=1
	s_delay_alu instid0(SALU_CYCLE_1) | instskip(NEXT) | instid1(SALU_CYCLE_1)
	s_or_b32 exec_lo, exec_lo, s19
	s_mov_b32 s1, exec_lo
	v_cmpx_gt_i32_e64 s22, v20
	s_cbranch_execz .LBB62_10
; %bb.23:                               ;   in Loop: Header=BB62_11 Depth=1
	s_and_saveexec_b32 s4, s18
	s_delay_alu instid0(SALU_CYCLE_1)
	s_xor_b32 s4, exec_lo, s4
	s_cbranch_execz .LBB62_28
; %bb.24:                               ;   in Loop: Header=BB62_11 Depth=1
	s_and_b32 vcc_lo, exec_lo, s16
	s_mov_b32 s5, -1
	s_cbranch_vccz .LBB62_26
; %bb.25:                               ;   in Loop: Header=BB62_11 Depth=1
	v_lshlrev_b64 v[0:1], 4, v[20:21]
	v_mul_f64 v[6:7], v[22:23], -v[10:11]
	v_mul_f64 v[26:27], v[8:9], v[22:23]
	s_mov_b32 s5, 0
	s_delay_alu instid0(VALU_DEP_3) | instskip(NEXT) | instid1(VALU_DEP_4)
	v_add_co_u32 v4, vcc_lo, v36, v0
	v_add_co_ci_u32_e32 v5, vcc_lo, v37, v1, vcc_lo
	global_load_b128 v[0:3], v[4:5], off
	v_fma_f64 v[6:7], v[8:9], v[24:25], v[6:7]
	v_fma_f64 v[26:27], v[10:11], v[24:25], v[26:27]
	s_waitcnt vmcnt(0)
	s_delay_alu instid0(VALU_DEP_2) | instskip(NEXT) | instid1(VALU_DEP_2)
	v_fma_f64 v[6:7], v[12:13], v[0:1], v[6:7]
	v_fma_f64 v[26:27], v[14:15], v[0:1], v[26:27]
	s_delay_alu instid0(VALU_DEP_2) | instskip(NEXT) | instid1(VALU_DEP_2)
	v_fma_f64 v[0:1], -v[14:15], v[2:3], v[6:7]
	v_fma_f64 v[2:3], v[12:13], v[2:3], v[26:27]
	global_store_b128 v[4:5], v[0:3], off
.LBB62_26:                              ;   in Loop: Header=BB62_11 Depth=1
	s_and_not1_b32 vcc_lo, exec_lo, s5
	s_cbranch_vccnz .LBB62_28
; %bb.27:                               ;   in Loop: Header=BB62_11 Depth=1
	v_mul_lo_u32 v2, v21, s14
	v_mul_lo_u32 v3, v20, s15
	v_mad_u64_u32 v[0:1], null, v20, s14, 0
	v_mul_f64 v[6:7], v[22:23], -v[10:11]
	v_mul_f64 v[20:21], v[8:9], v[22:23]
                                        ; implicit-def: $vgpr22_vgpr23
	s_delay_alu instid0(VALU_DEP_3) | instskip(NEXT) | instid1(VALU_DEP_1)
	v_add3_u32 v1, v1, v3, v2
	v_lshlrev_b64 v[0:1], 4, v[0:1]
	s_delay_alu instid0(VALU_DEP_1) | instskip(NEXT) | instid1(VALU_DEP_2)
	v_add_co_u32 v4, vcc_lo, v38, v0
	v_add_co_ci_u32_e32 v5, vcc_lo, v39, v1, vcc_lo
	global_load_b128 v[0:3], v[4:5], off
	v_fma_f64 v[6:7], v[8:9], v[24:25], v[6:7]
	v_fma_f64 v[20:21], v[10:11], v[24:25], v[20:21]
                                        ; implicit-def: $vgpr24_vgpr25
	s_waitcnt vmcnt(0)
	s_delay_alu instid0(VALU_DEP_2) | instskip(NEXT) | instid1(VALU_DEP_2)
	v_fma_f64 v[6:7], v[12:13], v[0:1], v[6:7]
	v_fma_f64 v[20:21], v[14:15], v[0:1], v[20:21]
	s_delay_alu instid0(VALU_DEP_2) | instskip(NEXT) | instid1(VALU_DEP_2)
	v_fma_f64 v[0:1], -v[14:15], v[2:3], v[6:7]
	v_fma_f64 v[2:3], v[12:13], v[2:3], v[20:21]
                                        ; implicit-def: $vgpr20
	global_store_b128 v[4:5], v[0:3], off
.LBB62_28:                              ;   in Loop: Header=BB62_11 Depth=1
	s_and_not1_saveexec_b32 s4, s4
	s_cbranch_execz .LBB62_10
; %bb.29:                               ;   in Loop: Header=BB62_11 Depth=1
	v_mul_f64 v[0:1], v[22:23], -v[10:11]
	v_mul_f64 v[2:3], v[8:9], v[22:23]
	s_and_b32 vcc_lo, exec_lo, s16
	s_mov_b32 s4, -1
	s_delay_alu instid0(VALU_DEP_2) | instskip(NEXT) | instid1(VALU_DEP_2)
	v_fma_f64 v[0:1], v[8:9], v[24:25], v[0:1]
	v_fma_f64 v[2:3], v[10:11], v[24:25], v[2:3]
	s_cbranch_vccz .LBB62_31
; %bb.30:                               ;   in Loop: Header=BB62_11 Depth=1
	v_lshlrev_b64 v[4:5], 4, v[20:21]
	s_mov_b32 s4, 0
	s_delay_alu instid0(VALU_DEP_1) | instskip(NEXT) | instid1(VALU_DEP_2)
	v_add_co_u32 v4, vcc_lo, v36, v4
	v_add_co_ci_u32_e32 v5, vcc_lo, v37, v5, vcc_lo
	global_store_b128 v[4:5], v[0:3], off
.LBB62_31:                              ;   in Loop: Header=BB62_11 Depth=1
	s_and_not1_b32 vcc_lo, exec_lo, s4
	s_cbranch_vccnz .LBB62_10
; %bb.32:                               ;   in Loop: Header=BB62_11 Depth=1
	v_mul_lo_u32 v6, v21, s14
	v_mul_lo_u32 v7, v20, s15
	v_mad_u64_u32 v[4:5], null, v20, s14, 0
	s_delay_alu instid0(VALU_DEP_1) | instskip(NEXT) | instid1(VALU_DEP_1)
	v_add3_u32 v5, v5, v7, v6
	v_lshlrev_b64 v[4:5], 4, v[4:5]
	s_delay_alu instid0(VALU_DEP_1) | instskip(NEXT) | instid1(VALU_DEP_2)
	v_add_co_u32 v4, vcc_lo, v38, v4
	v_add_co_ci_u32_e32 v5, vcc_lo, v39, v5, vcc_lo
	global_store_b128 v[4:5], v[0:3], off
	s_branch .LBB62_10
.LBB62_33:
	s_endpgm
	.section	.rodata,"a",@progbits
	.p2align	6, 0x0
	.amdhsa_kernel _ZN9rocsparseL29bsrmmnt_small_blockdim_kernelILj64ELj16ELj2Eli21rocsparse_complex_numIdES2_S2_S2_EEv20rocsparse_direction_T3_S4_llNS_24const_host_device_scalarIT7_EEPKT2_PKS4_PKT4_PKT5_llS7_PT6_ll16rocsparse_order_21rocsparse_index_base_b
		.amdhsa_group_segment_fixed_size 3840
		.amdhsa_private_segment_fixed_size 16
		.amdhsa_kernarg_size 408
		.amdhsa_user_sgpr_count 15
		.amdhsa_user_sgpr_dispatch_ptr 1
		.amdhsa_user_sgpr_queue_ptr 0
		.amdhsa_user_sgpr_kernarg_segment_ptr 1
		.amdhsa_user_sgpr_dispatch_id 0
		.amdhsa_user_sgpr_private_segment_size 0
		.amdhsa_wavefront_size32 1
		.amdhsa_uses_dynamic_stack 0
		.amdhsa_enable_private_segment 1
		.amdhsa_system_sgpr_workgroup_id_x 1
		.amdhsa_system_sgpr_workgroup_id_y 0
		.amdhsa_system_sgpr_workgroup_id_z 0
		.amdhsa_system_sgpr_workgroup_info 0
		.amdhsa_system_vgpr_workitem_id 2
		.amdhsa_next_free_vgpr 63
		.amdhsa_next_free_sgpr 24
		.amdhsa_reserve_vcc 1
		.amdhsa_float_round_mode_32 0
		.amdhsa_float_round_mode_16_64 0
		.amdhsa_float_denorm_mode_32 3
		.amdhsa_float_denorm_mode_16_64 3
		.amdhsa_dx10_clamp 1
		.amdhsa_ieee_mode 1
		.amdhsa_fp16_overflow 0
		.amdhsa_workgroup_processor_mode 1
		.amdhsa_memory_ordered 1
		.amdhsa_forward_progress 0
		.amdhsa_shared_vgpr_count 0
		.amdhsa_exception_fp_ieee_invalid_op 0
		.amdhsa_exception_fp_denorm_src 0
		.amdhsa_exception_fp_ieee_div_zero 0
		.amdhsa_exception_fp_ieee_overflow 0
		.amdhsa_exception_fp_ieee_underflow 0
		.amdhsa_exception_fp_ieee_inexact 0
		.amdhsa_exception_int_div_zero 0
	.end_amdhsa_kernel
	.section	.text._ZN9rocsparseL29bsrmmnt_small_blockdim_kernelILj64ELj16ELj2Eli21rocsparse_complex_numIdES2_S2_S2_EEv20rocsparse_direction_T3_S4_llNS_24const_host_device_scalarIT7_EEPKT2_PKS4_PKT4_PKT5_llS7_PT6_ll16rocsparse_order_21rocsparse_index_base_b,"axG",@progbits,_ZN9rocsparseL29bsrmmnt_small_blockdim_kernelILj64ELj16ELj2Eli21rocsparse_complex_numIdES2_S2_S2_EEv20rocsparse_direction_T3_S4_llNS_24const_host_device_scalarIT7_EEPKT2_PKS4_PKT4_PKT5_llS7_PT6_ll16rocsparse_order_21rocsparse_index_base_b,comdat
.Lfunc_end62:
	.size	_ZN9rocsparseL29bsrmmnt_small_blockdim_kernelILj64ELj16ELj2Eli21rocsparse_complex_numIdES2_S2_S2_EEv20rocsparse_direction_T3_S4_llNS_24const_host_device_scalarIT7_EEPKT2_PKS4_PKT4_PKT5_llS7_PT6_ll16rocsparse_order_21rocsparse_index_base_b, .Lfunc_end62-_ZN9rocsparseL29bsrmmnt_small_blockdim_kernelILj64ELj16ELj2Eli21rocsparse_complex_numIdES2_S2_S2_EEv20rocsparse_direction_T3_S4_llNS_24const_host_device_scalarIT7_EEPKT2_PKS4_PKT4_PKT5_llS7_PT6_ll16rocsparse_order_21rocsparse_index_base_b
                                        ; -- End function
	.section	.AMDGPU.csdata,"",@progbits
; Kernel info:
; codeLenInByte = 2284
; NumSgprs: 26
; NumVgprs: 63
; ScratchSize: 16
; MemoryBound: 1
; FloatMode: 240
; IeeeMode: 1
; LDSByteSize: 3840 bytes/workgroup (compile time only)
; SGPRBlocks: 3
; VGPRBlocks: 7
; NumSGPRsForWavesPerEU: 26
; NumVGPRsForWavesPerEU: 63
; Occupancy: 16
; WaveLimiterHint : 0
; COMPUTE_PGM_RSRC2:SCRATCH_EN: 1
; COMPUTE_PGM_RSRC2:USER_SGPR: 15
; COMPUTE_PGM_RSRC2:TRAP_HANDLER: 0
; COMPUTE_PGM_RSRC2:TGID_X_EN: 1
; COMPUTE_PGM_RSRC2:TGID_Y_EN: 0
; COMPUTE_PGM_RSRC2:TGID_Z_EN: 0
; COMPUTE_PGM_RSRC2:TIDIG_COMP_CNT: 2
	.section	.text._ZN9rocsparseL29bsrmmnt_small_blockdim_kernelILj64ELj32ELj2Eli21rocsparse_complex_numIdES2_S2_S2_EEv20rocsparse_direction_T3_S4_llNS_24const_host_device_scalarIT7_EEPKT2_PKS4_PKT4_PKT5_llS7_PT6_ll16rocsparse_order_21rocsparse_index_base_b,"axG",@progbits,_ZN9rocsparseL29bsrmmnt_small_blockdim_kernelILj64ELj32ELj2Eli21rocsparse_complex_numIdES2_S2_S2_EEv20rocsparse_direction_T3_S4_llNS_24const_host_device_scalarIT7_EEPKT2_PKS4_PKT4_PKT5_llS7_PT6_ll16rocsparse_order_21rocsparse_index_base_b,comdat
	.globl	_ZN9rocsparseL29bsrmmnt_small_blockdim_kernelILj64ELj32ELj2Eli21rocsparse_complex_numIdES2_S2_S2_EEv20rocsparse_direction_T3_S4_llNS_24const_host_device_scalarIT7_EEPKT2_PKS4_PKT4_PKT5_llS7_PT6_ll16rocsparse_order_21rocsparse_index_base_b ; -- Begin function _ZN9rocsparseL29bsrmmnt_small_blockdim_kernelILj64ELj32ELj2Eli21rocsparse_complex_numIdES2_S2_S2_EEv20rocsparse_direction_T3_S4_llNS_24const_host_device_scalarIT7_EEPKT2_PKS4_PKT4_PKT5_llS7_PT6_ll16rocsparse_order_21rocsparse_index_base_b
	.p2align	8
	.type	_ZN9rocsparseL29bsrmmnt_small_blockdim_kernelILj64ELj32ELj2Eli21rocsparse_complex_numIdES2_S2_S2_EEv20rocsparse_direction_T3_S4_llNS_24const_host_device_scalarIT7_EEPKT2_PKS4_PKT4_PKT5_llS7_PT6_ll16rocsparse_order_21rocsparse_index_base_b,@function
_ZN9rocsparseL29bsrmmnt_small_blockdim_kernelILj64ELj32ELj2Eli21rocsparse_complex_numIdES2_S2_S2_EEv20rocsparse_direction_T3_S4_llNS_24const_host_device_scalarIT7_EEPKT2_PKS4_PKT4_PKT5_llS7_PT6_ll16rocsparse_order_21rocsparse_index_base_b: ; @_ZN9rocsparseL29bsrmmnt_small_blockdim_kernelILj64ELj32ELj2Eli21rocsparse_complex_numIdES2_S2_S2_EEv20rocsparse_direction_T3_S4_llNS_24const_host_device_scalarIT7_EEPKT2_PKS4_PKT4_PKT5_llS7_PT6_ll16rocsparse_order_21rocsparse_index_base_b
; %bb.0:
	s_load_b128 s[16:19], s[2:3], 0x88
	s_load_b64 s[12:13], s[0:1], 0x4
	s_load_b128 s[8:11], s[2:3], 0x20
	v_bfe_u32 v2, v0, 10, 10
	s_mov_b64 s[0:1], src_shared_base
	s_load_b128 s[4:7], s[2:3], 0x60
	v_and_b32_e32 v1, 0x3ff, v0
	v_bfe_u32 v0, v0, 20, 10
	s_waitcnt lgkmcnt(0)
	s_bitcmp1_b32 s18, 0
	v_mul_u32_u24_e32 v2, s13, v2
	s_cselect_b32 s0, -1, 0
	v_mov_b32_e32 v10, s10
	s_and_b32 vcc_lo, s0, exec_lo
	s_cselect_b32 s1, s1, s9
	s_lshr_b32 s12, s12, 16
	v_dual_mov_b32 v4, s4 :: v_dual_mov_b32 v5, s5
	s_mul_i32 s12, s12, s13
	v_mov_b32_e32 v7, s1
	v_mad_u32_u24 v2, s12, v1, v2
	v_mov_b32_e32 v11, s11
	scratch_store_b64 off, v[4:5], off
	s_xor_b32 s1, s0, -1
	v_add_lshl_u32 v0, v2, v0, 3
	v_dual_mov_b32 v2, s8 :: v_dual_mov_b32 v3, s9
	s_delay_alu instid0(VALU_DEP_2)
	v_add_nc_u32_e32 v6, 0xd00, v0
	ds_store_b64 v0, v[2:3] offset:3328
	v_cndmask_b32_e64 v6, s8, v6, s0
	flat_load_b64 v[8:9], v[6:7]
	s_cbranch_vccnz .LBB63_2
; %bb.1:
	v_dual_mov_b32 v2, s8 :: v_dual_mov_b32 v3, s9
	flat_load_b64 v[10:11], v[2:3] offset:8
.LBB63_2:
	s_mov_b64 s[8:9], src_private_base
	s_and_b32 s8, s0, exec_lo
	s_cselect_b32 s8, s9, s5
	s_delay_alu instid0(SALU_CYCLE_1) | instskip(SKIP_2) | instid1(VALU_DEP_2)
	v_dual_mov_b32 v0, 0 :: v_dual_mov_b32 v3, s8
	v_dual_mov_b32 v15, s7 :: v_dual_mov_b32 v14, s6
	s_and_not1_b32 vcc_lo, exec_lo, s1
	v_cndmask_b32_e64 v2, s4, v0, s0
	flat_load_b64 v[12:13], v[2:3]
	s_cbranch_vccnz .LBB63_4
; %bb.3:
	v_dual_mov_b32 v2, s4 :: v_dual_mov_b32 v3, s5
	flat_load_b64 v[14:15], v[2:3] offset:8
.LBB63_4:
	s_waitcnt vmcnt(1) lgkmcnt(1)
	v_cmp_eq_f64_e32 vcc_lo, 0, v[8:9]
	v_cmp_eq_f64_e64 s0, 0, v[10:11]
	s_delay_alu instid0(VALU_DEP_1)
	s_and_b32 s4, vcc_lo, s0
	s_mov_b32 s0, -1
	s_and_saveexec_b32 s1, s4
	s_cbranch_execz .LBB63_6
; %bb.5:
	s_waitcnt vmcnt(0) lgkmcnt(0)
	v_cmp_neq_f64_e32 vcc_lo, 1.0, v[12:13]
	v_cmp_neq_f64_e64 s0, 0, v[14:15]
	s_delay_alu instid0(VALU_DEP_1) | instskip(NEXT) | instid1(SALU_CYCLE_1)
	s_or_b32 s0, vcc_lo, s0
	s_or_not1_b32 s0, s0, exec_lo
.LBB63_6:
	s_or_b32 exec_lo, exec_lo, s1
	s_and_saveexec_b32 s1, s0
	s_cbranch_execz .LBB63_33
; %bb.7:
	s_clause 0x1
	s_load_b32 s0, s[2:3], 0xa4
	s_load_b128 s[20:23], s[2:3], 0x0
	s_waitcnt lgkmcnt(0)
	s_and_b32 s0, s0, 0xffff
	s_delay_alu instid0(SALU_CYCLE_1) | instskip(NEXT) | instid1(VALU_DEP_1)
	v_mad_u64_u32 v[2:3], null, s15, s0, v[1:2]
	v_lshrrev_b32_e32 v0, 6, v2
	s_delay_alu instid0(VALU_DEP_1)
	v_cmp_gt_i32_e32 vcc_lo, s21, v0
	s_and_b32 exec_lo, exec_lo, vcc_lo
	s_cbranch_execz .LBB63_33
; %bb.8:
	s_cmp_lt_i32 s22, 1
	s_cbranch_scc1 .LBB63_33
; %bb.9:
	s_load_b256 s[4:11], s[2:3], 0x30
	v_dual_mov_b32 v31, 0 :: v_dual_lshlrev_b32 v0, 3, v0
	s_load_b128 s[12:15], s[2:3], 0x70
	s_waitcnt vmcnt(0)
	v_cmp_neq_f64_e32 vcc_lo, 0, v[12:13]
	v_cmp_neq_f64_e64 s0, 0, v[14:15]
	v_lshrrev_b32_e32 v7, 5, v2
	v_and_b32_e32 v30, 31, v1
	s_load_b64 s[2:3], s[2:3], 0x50
	v_lshrrev_b32_e32 v19, 5, v1
	v_bfe_u32 v2, v2, 5, 1
	s_delay_alu instid0(VALU_DEP_2) | instskip(SKIP_1) | instid1(VALU_DEP_2)
	v_lshl_or_b32 v32, v19, 7, 0xc00
	v_mul_u32_u24_e32 v33, 0x600, v19
	v_lshl_or_b32 v34, v30, 2, v32
	s_waitcnt lgkmcnt(0)
	global_load_b128 v[3:6], v0, s[4:5]
	v_mad_u64_u32 v[16:17], null, v7, s14, 0
	s_delay_alu instid0(VALU_DEP_1) | instskip(NEXT) | instid1(VALU_DEP_1)
	v_mov_b32_e32 v0, v17
	v_mad_u64_u32 v[17:18], null, v7, s15, v[0:1]
	v_lshlrev_b32_e32 v7, 4, v7
	v_mul_u32_u24_e32 v0, 3, v30
	s_or_b32 s18, vcc_lo, s0
	s_delay_alu instid0(VALU_DEP_1) | instskip(NEXT) | instid1(VALU_DEP_4)
	v_lshlrev_b32_e32 v18, 4, v0
	v_lshlrev_b64 v[0:1], 4, v[16:17]
	s_cmp_lg_u32 s16, 1
	v_add_co_u32 v38, s4, s12, v7
	s_cselect_b32 s16, -1, 0
	s_cmp_eq_u32 s20, 0
	s_delay_alu instid0(VALU_DEP_2)
	v_add_co_u32 v36, vcc_lo, s12, v0
	s_cselect_b32 s1, -1, 0
	v_add_co_ci_u32_e32 v37, vcc_lo, s13, v1, vcc_lo
	v_cndmask_b32_e64 v20, 0, 1, s1
	v_mad_u32_u24 v35, 0x600, v19, v18
	v_add_co_ci_u32_e64 v39, null, s13, 0, s4
	s_and_b32 s1, s1, exec_lo
	s_delay_alu instid0(VALU_DEP_3)
	v_lshlrev_b32_e32 v40, v20, v2
	s_mov_b32 s12, 0
	s_cselect_b32 s13, 1, 2
	s_waitcnt vmcnt(0)
	v_sub_co_u32 v16, vcc_lo, v3, s17
	v_subrev_co_ci_u32_e32 v17, vcc_lo, 0, v4, vcc_lo
	v_sub_co_u32 v18, vcc_lo, v5, s17
	v_cmp_lt_i64_e64 s0, v[3:4], v[5:6]
	v_subrev_co_ci_u32_e32 v19, vcc_lo, 0, v6, vcc_lo
	s_branch .LBB63_11
.LBB63_10:                              ;   in Loop: Header=BB63_11 Depth=1
	s_or_b32 exec_lo, exec_lo, s1
	s_add_i32 s12, s12, 32
	s_delay_alu instid0(SALU_CYCLE_1)
	s_cmp_lt_i32 s12, s22
	s_cbranch_scc0 .LBB63_33
.LBB63_11:                              ; =>This Loop Header: Depth=1
                                        ;     Child Loop BB63_14 Depth 2
                                        ;       Child Loop BB63_20 Depth 3
	v_mov_b32_e32 v22, 0
	v_or_b32_e32 v20, s12, v30
	v_mov_b32_e32 v23, 0
	s_delay_alu instid0(VALU_DEP_2) | instskip(NEXT) | instid1(VALU_DEP_2)
	v_ashrrev_i32_e32 v21, 31, v20
	v_dual_mov_b32 v25, v23 :: v_dual_mov_b32 v24, v22
	s_and_saveexec_b32 s19, s0
	s_cbranch_execz .LBB63_22
; %bb.12:                               ;   in Loop: Header=BB63_11 Depth=1
	s_delay_alu instid0(VALU_DEP_2) | instskip(SKIP_3) | instid1(VALU_DEP_4)
	v_lshlrev_b64 v[0:1], 4, v[20:21]
	v_dual_mov_b32 v22, 0 :: v_dual_mov_b32 v27, v17
	v_dual_mov_b32 v23, 0 :: v_dual_mov_b32 v26, v16
	v_cmp_gt_i32_e32 vcc_lo, s22, v20
	v_add_co_u32 v41, s1, s10, v0
	s_delay_alu instid0(VALU_DEP_1) | instskip(NEXT) | instid1(VALU_DEP_4)
	v_add_co_ci_u32_e64 v42, s1, s11, v1, s1
	v_dual_mov_b32 v25, v23 :: v_dual_mov_b32 v24, v22
	s_mov_b32 s20, 0
	s_branch .LBB63_14
.LBB63_13:                              ;   in Loop: Header=BB63_14 Depth=2
	s_or_b32 exec_lo, exec_lo, s4
	v_add_co_u32 v26, s1, v26, 32
	s_delay_alu instid0(VALU_DEP_1) | instskip(NEXT) | instid1(VALU_DEP_1)
	v_add_co_ci_u32_e64 v27, s1, 0, v27, s1
	v_cmp_ge_i64_e64 s1, v[26:27], v[18:19]
	s_delay_alu instid0(VALU_DEP_1) | instskip(NEXT) | instid1(SALU_CYCLE_1)
	s_or_b32 s20, s1, s20
	s_and_not1_b32 exec_lo, exec_lo, s20
	s_cbranch_execz .LBB63_21
.LBB63_14:                              ;   Parent Loop BB63_11 Depth=1
                                        ; =>  This Loop Header: Depth=2
                                        ;       Child Loop BB63_20 Depth 3
	v_add_co_u32 v28, s1, v26, v30
	s_delay_alu instid0(VALU_DEP_1) | instskip(NEXT) | instid1(VALU_DEP_1)
	v_add_co_ci_u32_e64 v29, s1, 0, v27, s1
                                        ; implicit-def: $sgpr4_sgpr5
	v_cmp_ge_i64_e64 s1, v[28:29], v[18:19]
	s_delay_alu instid0(VALU_DEP_1) | instskip(NEXT) | instid1(SALU_CYCLE_1)
	s_and_saveexec_b32 s21, s1
	s_xor_b32 s1, exec_lo, s21
	s_cbranch_execz .LBB63_16
; %bb.15:                               ;   in Loop: Header=BB63_14 Depth=2
	s_mov_b64 s[4:5], 0
	ds_store_b32 v34, v31
                                        ; implicit-def: $vgpr28_vgpr29
.LBB63_16:                              ;   in Loop: Header=BB63_14 Depth=2
	s_or_saveexec_b32 s21, s1
	v_dual_mov_b32 v4, s4 :: v_dual_mov_b32 v5, s5
	v_dual_mov_b32 v7, s5 :: v_dual_mov_b32 v6, s4
	;; [unrolled: 1-line block ×4, first 2 shown]
	s_xor_b32 exec_lo, exec_lo, s21
	s_cbranch_execz .LBB63_18
; %bb.17:                               ;   in Loop: Header=BB63_14 Depth=2
	v_lshlrev_b64 v[0:1], 2, v[28:29]
	s_delay_alu instid0(VALU_DEP_1) | instskip(NEXT) | instid1(VALU_DEP_2)
	v_or_b32_e32 v3, 0, v1
	v_or_b32_e32 v2, v0, v40
	v_add_co_u32 v0, s1, s6, v0
	s_delay_alu instid0(VALU_DEP_1) | instskip(NEXT) | instid1(VALU_DEP_4)
	v_add_co_ci_u32_e64 v1, s1, s7, v1, s1
	v_or_b32_e32 v5, 0, v3
	s_delay_alu instid0(VALU_DEP_4) | instskip(SKIP_4) | instid1(VALU_DEP_1)
	v_or_b32_e32 v4, s13, v2
	v_lshlrev_b64 v[2:3], 4, v[2:3]
	global_load_b32 v28, v[0:1], off
	v_lshlrev_b64 v[0:1], 4, v[4:5]
	v_add_co_u32 v2, s1, s8, v2
	v_add_co_ci_u32_e64 v3, s1, s9, v3, s1
	s_delay_alu instid0(VALU_DEP_3) | instskip(NEXT) | instid1(VALU_DEP_1)
	v_add_co_u32 v0, s1, s8, v0
	v_add_co_ci_u32_e64 v1, s1, s9, v1, s1
	s_clause 0x1
	global_load_b128 v[4:7], v[2:3], off
	global_load_b128 v[0:3], v[0:1], off
	s_waitcnt vmcnt(2)
	v_subrev_nc_u32_e32 v28, s17, v28
	s_delay_alu instid0(VALU_DEP_1)
	v_lshlrev_b32_e32 v28, 1, v28
	ds_store_b32 v34, v28
.LBB63_18:                              ;   in Loop: Header=BB63_14 Depth=2
	s_or_b32 exec_lo, exec_lo, s21
	s_waitcnt vmcnt(1)
	ds_store_b128 v35, v[4:7]
	s_waitcnt vmcnt(0)
	ds_store_b128 v35, v[0:3] offset:16
	s_waitcnt lgkmcnt(0)
	s_waitcnt_vscnt null, 0x0
	s_barrier
	buffer_gl0_inv
	s_and_saveexec_b32 s4, vcc_lo
	s_cbranch_execz .LBB63_13
; %bb.19:                               ;   in Loop: Header=BB63_14 Depth=2
	v_mov_b32_e32 v0, v33
	s_mov_b32 s5, 0
.LBB63_20:                              ;   Parent Loop BB63_11 Depth=1
                                        ;     Parent Loop BB63_14 Depth=2
                                        ; =>    This Inner Loop Header: Depth=3
	s_delay_alu instid0(SALU_CYCLE_1) | instskip(SKIP_1) | instid1(SALU_CYCLE_1)
	v_add_nc_u32_e32 v1, s5, v32
	s_add_i32 s5, s5, 8
	s_cmpk_lg_i32 s5, 0x80
	ds_load_b64 v[5:6], v1
	s_waitcnt lgkmcnt(0)
	v_ashrrev_i32_e32 v3, 31, v5
	v_mul_lo_u32 v4, v5, s3
	v_mad_u64_u32 v[1:2], null, v5, s2, 0
	v_add_nc_u32_e32 v5, 1, v5
	s_delay_alu instid0(VALU_DEP_4) | instskip(NEXT) | instid1(VALU_DEP_2)
	v_mul_lo_u32 v3, v3, s2
	v_ashrrev_i32_e32 v7, 31, v5
	v_mul_lo_u32 v43, v5, s3
	v_mad_u64_u32 v[28:29], null, v5, s2, 0
	s_delay_alu instid0(VALU_DEP_4) | instskip(NEXT) | instid1(VALU_DEP_4)
	v_add3_u32 v2, v2, v4, v3
	v_mul_lo_u32 v5, v7, s2
	v_mul_lo_u32 v7, v6, s3
	s_delay_alu instid0(VALU_DEP_3) | instskip(NEXT) | instid1(VALU_DEP_3)
	v_lshlrev_b64 v[1:2], 4, v[1:2]
	v_add3_u32 v29, v29, v43, v5
	v_ashrrev_i32_e32 v5, 31, v6
	s_delay_alu instid0(VALU_DEP_3) | instskip(NEXT) | instid1(VALU_DEP_1)
	v_add_co_u32 v1, s1, v41, v1
	v_add_co_ci_u32_e64 v2, s1, v42, v2, s1
	s_delay_alu instid0(VALU_DEP_4) | instskip(NEXT) | instid1(VALU_DEP_4)
	v_lshlrev_b64 v[28:29], 4, v[28:29]
	v_mul_lo_u32 v5, v5, s2
	global_load_b128 v[1:4], v[1:2], off
	v_add_co_u32 v28, s1, v41, v28
	s_delay_alu instid0(VALU_DEP_1) | instskip(SKIP_2) | instid1(VALU_DEP_1)
	v_add_co_ci_u32_e64 v29, s1, v42, v29, s1
	global_load_b128 v[43:46], v[28:29], off
	v_mad_u64_u32 v[28:29], null, v6, s2, 0
	v_add3_u32 v29, v29, v7, v5
	v_add_nc_u32_e32 v7, 1, v6
	s_delay_alu instid0(VALU_DEP_2) | instskip(NEXT) | instid1(VALU_DEP_2)
	v_lshlrev_b64 v[28:29], 4, v[28:29]
	v_mad_u64_u32 v[5:6], null, v7, s2, 0
	s_delay_alu instid0(VALU_DEP_2) | instskip(NEXT) | instid1(VALU_DEP_1)
	v_add_co_u32 v28, s1, v41, v28
	v_add_co_ci_u32_e64 v29, s1, v42, v29, s1
	global_load_b128 v[47:50], v[28:29], off
	v_ashrrev_i32_e32 v28, 31, v7
	v_mul_lo_u32 v29, v7, s3
	s_delay_alu instid0(VALU_DEP_2) | instskip(NEXT) | instid1(VALU_DEP_1)
	v_mul_lo_u32 v7, v28, s2
	v_add3_u32 v6, v6, v29, v7
	s_delay_alu instid0(VALU_DEP_1) | instskip(NEXT) | instid1(VALU_DEP_1)
	v_lshlrev_b64 v[5:6], 4, v[5:6]
	v_add_co_u32 v5, s1, v41, v5
	s_delay_alu instid0(VALU_DEP_1)
	v_add_co_ci_u32_e64 v6, s1, v42, v6, s1
	global_load_b128 v[51:54], v[5:6], off
	ds_load_b128 v[55:58], v0
	ds_load_b128 v[59:62], v0 offset:16
	s_waitcnt vmcnt(3) lgkmcnt(1)
	v_fma_f64 v[5:6], v[55:56], v[1:2], v[24:25]
	v_fma_f64 v[1:2], v[57:58], v[1:2], v[22:23]
	s_delay_alu instid0(VALU_DEP_2) | instskip(NEXT) | instid1(VALU_DEP_2)
	v_fma_f64 v[5:6], -v[57:58], v[3:4], v[5:6]
	v_fma_f64 v[1:2], v[55:56], v[3:4], v[1:2]
	s_waitcnt vmcnt(2) lgkmcnt(0)
	s_delay_alu instid0(VALU_DEP_2) | instskip(NEXT) | instid1(VALU_DEP_2)
	v_fma_f64 v[3:4], v[59:60], v[43:44], v[5:6]
	v_fma_f64 v[1:2], v[61:62], v[43:44], v[1:2]
	s_delay_alu instid0(VALU_DEP_2) | instskip(NEXT) | instid1(VALU_DEP_2)
	v_fma_f64 v[5:6], -v[61:62], v[45:46], v[3:4]
	v_fma_f64 v[28:29], v[59:60], v[45:46], v[1:2]
	ds_load_b128 v[1:4], v0 offset:48
	ds_load_b128 v[22:25], v0 offset:64
	v_add_nc_u32_e32 v0, 0x60, v0
	s_waitcnt vmcnt(1) lgkmcnt(1)
	v_fma_f64 v[5:6], v[1:2], v[47:48], v[5:6]
	v_fma_f64 v[28:29], v[3:4], v[47:48], v[28:29]
	s_delay_alu instid0(VALU_DEP_2) | instskip(NEXT) | instid1(VALU_DEP_2)
	v_fma_f64 v[3:4], -v[3:4], v[49:50], v[5:6]
	v_fma_f64 v[1:2], v[1:2], v[49:50], v[28:29]
	s_waitcnt vmcnt(0) lgkmcnt(0)
	s_delay_alu instid0(VALU_DEP_2) | instskip(NEXT) | instid1(VALU_DEP_2)
	v_fma_f64 v[3:4], v[22:23], v[51:52], v[3:4]
	v_fma_f64 v[1:2], v[24:25], v[51:52], v[1:2]
	s_delay_alu instid0(VALU_DEP_2) | instskip(NEXT) | instid1(VALU_DEP_2)
	v_fma_f64 v[24:25], -v[24:25], v[53:54], v[3:4]
	v_fma_f64 v[22:23], v[22:23], v[53:54], v[1:2]
	s_cbranch_scc1 .LBB63_20
	s_branch .LBB63_13
.LBB63_21:                              ;   in Loop: Header=BB63_11 Depth=1
	s_or_b32 exec_lo, exec_lo, s20
.LBB63_22:                              ;   in Loop: Header=BB63_11 Depth=1
	s_delay_alu instid0(SALU_CYCLE_1) | instskip(NEXT) | instid1(SALU_CYCLE_1)
	s_or_b32 exec_lo, exec_lo, s19
	s_mov_b32 s1, exec_lo
	v_cmpx_gt_i32_e64 s22, v20
	s_cbranch_execz .LBB63_10
; %bb.23:                               ;   in Loop: Header=BB63_11 Depth=1
	s_and_saveexec_b32 s4, s18
	s_delay_alu instid0(SALU_CYCLE_1)
	s_xor_b32 s4, exec_lo, s4
	s_cbranch_execz .LBB63_28
; %bb.24:                               ;   in Loop: Header=BB63_11 Depth=1
	s_and_b32 vcc_lo, exec_lo, s16
	s_mov_b32 s5, -1
	s_cbranch_vccz .LBB63_26
; %bb.25:                               ;   in Loop: Header=BB63_11 Depth=1
	v_lshlrev_b64 v[0:1], 4, v[20:21]
	v_mul_f64 v[6:7], v[22:23], -v[10:11]
	v_mul_f64 v[26:27], v[8:9], v[22:23]
	s_mov_b32 s5, 0
	s_delay_alu instid0(VALU_DEP_3) | instskip(NEXT) | instid1(VALU_DEP_4)
	v_add_co_u32 v4, vcc_lo, v36, v0
	v_add_co_ci_u32_e32 v5, vcc_lo, v37, v1, vcc_lo
	global_load_b128 v[0:3], v[4:5], off
	v_fma_f64 v[6:7], v[8:9], v[24:25], v[6:7]
	v_fma_f64 v[26:27], v[10:11], v[24:25], v[26:27]
	s_waitcnt vmcnt(0)
	s_delay_alu instid0(VALU_DEP_2) | instskip(NEXT) | instid1(VALU_DEP_2)
	v_fma_f64 v[6:7], v[12:13], v[0:1], v[6:7]
	v_fma_f64 v[26:27], v[14:15], v[0:1], v[26:27]
	s_delay_alu instid0(VALU_DEP_2) | instskip(NEXT) | instid1(VALU_DEP_2)
	v_fma_f64 v[0:1], -v[14:15], v[2:3], v[6:7]
	v_fma_f64 v[2:3], v[12:13], v[2:3], v[26:27]
	global_store_b128 v[4:5], v[0:3], off
.LBB63_26:                              ;   in Loop: Header=BB63_11 Depth=1
	s_and_not1_b32 vcc_lo, exec_lo, s5
	s_cbranch_vccnz .LBB63_28
; %bb.27:                               ;   in Loop: Header=BB63_11 Depth=1
	v_mul_lo_u32 v2, v21, s14
	v_mul_lo_u32 v3, v20, s15
	v_mad_u64_u32 v[0:1], null, v20, s14, 0
	v_mul_f64 v[6:7], v[22:23], -v[10:11]
	v_mul_f64 v[20:21], v[8:9], v[22:23]
                                        ; implicit-def: $vgpr22_vgpr23
	s_delay_alu instid0(VALU_DEP_3) | instskip(NEXT) | instid1(VALU_DEP_1)
	v_add3_u32 v1, v1, v3, v2
	v_lshlrev_b64 v[0:1], 4, v[0:1]
	s_delay_alu instid0(VALU_DEP_1) | instskip(NEXT) | instid1(VALU_DEP_2)
	v_add_co_u32 v4, vcc_lo, v38, v0
	v_add_co_ci_u32_e32 v5, vcc_lo, v39, v1, vcc_lo
	global_load_b128 v[0:3], v[4:5], off
	v_fma_f64 v[6:7], v[8:9], v[24:25], v[6:7]
	v_fma_f64 v[20:21], v[10:11], v[24:25], v[20:21]
                                        ; implicit-def: $vgpr24_vgpr25
	s_waitcnt vmcnt(0)
	s_delay_alu instid0(VALU_DEP_2) | instskip(NEXT) | instid1(VALU_DEP_2)
	v_fma_f64 v[6:7], v[12:13], v[0:1], v[6:7]
	v_fma_f64 v[20:21], v[14:15], v[0:1], v[20:21]
	s_delay_alu instid0(VALU_DEP_2) | instskip(NEXT) | instid1(VALU_DEP_2)
	v_fma_f64 v[0:1], -v[14:15], v[2:3], v[6:7]
	v_fma_f64 v[2:3], v[12:13], v[2:3], v[20:21]
                                        ; implicit-def: $vgpr20
	global_store_b128 v[4:5], v[0:3], off
.LBB63_28:                              ;   in Loop: Header=BB63_11 Depth=1
	s_and_not1_saveexec_b32 s4, s4
	s_cbranch_execz .LBB63_10
; %bb.29:                               ;   in Loop: Header=BB63_11 Depth=1
	v_mul_f64 v[0:1], v[22:23], -v[10:11]
	v_mul_f64 v[2:3], v[8:9], v[22:23]
	s_and_b32 vcc_lo, exec_lo, s16
	s_mov_b32 s4, -1
	s_delay_alu instid0(VALU_DEP_2) | instskip(NEXT) | instid1(VALU_DEP_2)
	v_fma_f64 v[0:1], v[8:9], v[24:25], v[0:1]
	v_fma_f64 v[2:3], v[10:11], v[24:25], v[2:3]
	s_cbranch_vccz .LBB63_31
; %bb.30:                               ;   in Loop: Header=BB63_11 Depth=1
	v_lshlrev_b64 v[4:5], 4, v[20:21]
	s_mov_b32 s4, 0
	s_delay_alu instid0(VALU_DEP_1) | instskip(NEXT) | instid1(VALU_DEP_2)
	v_add_co_u32 v4, vcc_lo, v36, v4
	v_add_co_ci_u32_e32 v5, vcc_lo, v37, v5, vcc_lo
	global_store_b128 v[4:5], v[0:3], off
.LBB63_31:                              ;   in Loop: Header=BB63_11 Depth=1
	s_and_not1_b32 vcc_lo, exec_lo, s4
	s_cbranch_vccnz .LBB63_10
; %bb.32:                               ;   in Loop: Header=BB63_11 Depth=1
	v_mul_lo_u32 v6, v21, s14
	v_mul_lo_u32 v7, v20, s15
	v_mad_u64_u32 v[4:5], null, v20, s14, 0
	s_delay_alu instid0(VALU_DEP_1) | instskip(NEXT) | instid1(VALU_DEP_1)
	v_add3_u32 v5, v5, v7, v6
	v_lshlrev_b64 v[4:5], 4, v[4:5]
	s_delay_alu instid0(VALU_DEP_1) | instskip(NEXT) | instid1(VALU_DEP_2)
	v_add_co_u32 v4, vcc_lo, v38, v4
	v_add_co_ci_u32_e32 v5, vcc_lo, v39, v5, vcc_lo
	global_store_b128 v[4:5], v[0:3], off
	s_branch .LBB63_10
.LBB63_33:
	s_endpgm
	.section	.rodata,"a",@progbits
	.p2align	6, 0x0
	.amdhsa_kernel _ZN9rocsparseL29bsrmmnt_small_blockdim_kernelILj64ELj32ELj2Eli21rocsparse_complex_numIdES2_S2_S2_EEv20rocsparse_direction_T3_S4_llNS_24const_host_device_scalarIT7_EEPKT2_PKS4_PKT4_PKT5_llS7_PT6_ll16rocsparse_order_21rocsparse_index_base_b
		.amdhsa_group_segment_fixed_size 3840
		.amdhsa_private_segment_fixed_size 16
		.amdhsa_kernarg_size 408
		.amdhsa_user_sgpr_count 15
		.amdhsa_user_sgpr_dispatch_ptr 1
		.amdhsa_user_sgpr_queue_ptr 0
		.amdhsa_user_sgpr_kernarg_segment_ptr 1
		.amdhsa_user_sgpr_dispatch_id 0
		.amdhsa_user_sgpr_private_segment_size 0
		.amdhsa_wavefront_size32 1
		.amdhsa_uses_dynamic_stack 0
		.amdhsa_enable_private_segment 1
		.amdhsa_system_sgpr_workgroup_id_x 1
		.amdhsa_system_sgpr_workgroup_id_y 0
		.amdhsa_system_sgpr_workgroup_id_z 0
		.amdhsa_system_sgpr_workgroup_info 0
		.amdhsa_system_vgpr_workitem_id 2
		.amdhsa_next_free_vgpr 63
		.amdhsa_next_free_sgpr 24
		.amdhsa_reserve_vcc 1
		.amdhsa_float_round_mode_32 0
		.amdhsa_float_round_mode_16_64 0
		.amdhsa_float_denorm_mode_32 3
		.amdhsa_float_denorm_mode_16_64 3
		.amdhsa_dx10_clamp 1
		.amdhsa_ieee_mode 1
		.amdhsa_fp16_overflow 0
		.amdhsa_workgroup_processor_mode 1
		.amdhsa_memory_ordered 1
		.amdhsa_forward_progress 0
		.amdhsa_shared_vgpr_count 0
		.amdhsa_exception_fp_ieee_invalid_op 0
		.amdhsa_exception_fp_denorm_src 0
		.amdhsa_exception_fp_ieee_div_zero 0
		.amdhsa_exception_fp_ieee_overflow 0
		.amdhsa_exception_fp_ieee_underflow 0
		.amdhsa_exception_fp_ieee_inexact 0
		.amdhsa_exception_int_div_zero 0
	.end_amdhsa_kernel
	.section	.text._ZN9rocsparseL29bsrmmnt_small_blockdim_kernelILj64ELj32ELj2Eli21rocsparse_complex_numIdES2_S2_S2_EEv20rocsparse_direction_T3_S4_llNS_24const_host_device_scalarIT7_EEPKT2_PKS4_PKT4_PKT5_llS7_PT6_ll16rocsparse_order_21rocsparse_index_base_b,"axG",@progbits,_ZN9rocsparseL29bsrmmnt_small_blockdim_kernelILj64ELj32ELj2Eli21rocsparse_complex_numIdES2_S2_S2_EEv20rocsparse_direction_T3_S4_llNS_24const_host_device_scalarIT7_EEPKT2_PKS4_PKT4_PKT5_llS7_PT6_ll16rocsparse_order_21rocsparse_index_base_b,comdat
.Lfunc_end63:
	.size	_ZN9rocsparseL29bsrmmnt_small_blockdim_kernelILj64ELj32ELj2Eli21rocsparse_complex_numIdES2_S2_S2_EEv20rocsparse_direction_T3_S4_llNS_24const_host_device_scalarIT7_EEPKT2_PKS4_PKT4_PKT5_llS7_PT6_ll16rocsparse_order_21rocsparse_index_base_b, .Lfunc_end63-_ZN9rocsparseL29bsrmmnt_small_blockdim_kernelILj64ELj32ELj2Eli21rocsparse_complex_numIdES2_S2_S2_EEv20rocsparse_direction_T3_S4_llNS_24const_host_device_scalarIT7_EEPKT2_PKS4_PKT4_PKT5_llS7_PT6_ll16rocsparse_order_21rocsparse_index_base_b
                                        ; -- End function
	.section	.AMDGPU.csdata,"",@progbits
; Kernel info:
; codeLenInByte = 2288
; NumSgprs: 26
; NumVgprs: 63
; ScratchSize: 16
; MemoryBound: 1
; FloatMode: 240
; IeeeMode: 1
; LDSByteSize: 3840 bytes/workgroup (compile time only)
; SGPRBlocks: 3
; VGPRBlocks: 7
; NumSGPRsForWavesPerEU: 26
; NumVGPRsForWavesPerEU: 63
; Occupancy: 16
; WaveLimiterHint : 0
; COMPUTE_PGM_RSRC2:SCRATCH_EN: 1
; COMPUTE_PGM_RSRC2:USER_SGPR: 15
; COMPUTE_PGM_RSRC2:TRAP_HANDLER: 0
; COMPUTE_PGM_RSRC2:TGID_X_EN: 1
; COMPUTE_PGM_RSRC2:TGID_Y_EN: 0
; COMPUTE_PGM_RSRC2:TGID_Z_EN: 0
; COMPUTE_PGM_RSRC2:TIDIG_COMP_CNT: 2
	.section	.text._ZN9rocsparseL29bsrmmnt_small_blockdim_kernelILj64ELj64ELj2Eli21rocsparse_complex_numIdES2_S2_S2_EEv20rocsparse_direction_T3_S4_llNS_24const_host_device_scalarIT7_EEPKT2_PKS4_PKT4_PKT5_llS7_PT6_ll16rocsparse_order_21rocsparse_index_base_b,"axG",@progbits,_ZN9rocsparseL29bsrmmnt_small_blockdim_kernelILj64ELj64ELj2Eli21rocsparse_complex_numIdES2_S2_S2_EEv20rocsparse_direction_T3_S4_llNS_24const_host_device_scalarIT7_EEPKT2_PKS4_PKT4_PKT5_llS7_PT6_ll16rocsparse_order_21rocsparse_index_base_b,comdat
	.globl	_ZN9rocsparseL29bsrmmnt_small_blockdim_kernelILj64ELj64ELj2Eli21rocsparse_complex_numIdES2_S2_S2_EEv20rocsparse_direction_T3_S4_llNS_24const_host_device_scalarIT7_EEPKT2_PKS4_PKT4_PKT5_llS7_PT6_ll16rocsparse_order_21rocsparse_index_base_b ; -- Begin function _ZN9rocsparseL29bsrmmnt_small_blockdim_kernelILj64ELj64ELj2Eli21rocsparse_complex_numIdES2_S2_S2_EEv20rocsparse_direction_T3_S4_llNS_24const_host_device_scalarIT7_EEPKT2_PKS4_PKT4_PKT5_llS7_PT6_ll16rocsparse_order_21rocsparse_index_base_b
	.p2align	8
	.type	_ZN9rocsparseL29bsrmmnt_small_blockdim_kernelILj64ELj64ELj2Eli21rocsparse_complex_numIdES2_S2_S2_EEv20rocsparse_direction_T3_S4_llNS_24const_host_device_scalarIT7_EEPKT2_PKS4_PKT4_PKT5_llS7_PT6_ll16rocsparse_order_21rocsparse_index_base_b,@function
_ZN9rocsparseL29bsrmmnt_small_blockdim_kernelILj64ELj64ELj2Eli21rocsparse_complex_numIdES2_S2_S2_EEv20rocsparse_direction_T3_S4_llNS_24const_host_device_scalarIT7_EEPKT2_PKS4_PKT4_PKT5_llS7_PT6_ll16rocsparse_order_21rocsparse_index_base_b: ; @_ZN9rocsparseL29bsrmmnt_small_blockdim_kernelILj64ELj64ELj2Eli21rocsparse_complex_numIdES2_S2_S2_EEv20rocsparse_direction_T3_S4_llNS_24const_host_device_scalarIT7_EEPKT2_PKS4_PKT4_PKT5_llS7_PT6_ll16rocsparse_order_21rocsparse_index_base_b
; %bb.0:
	s_load_b128 s[16:19], s[2:3], 0x88
	s_load_b64 s[12:13], s[0:1], 0x4
	s_load_b128 s[8:11], s[2:3], 0x20
	v_bfe_u32 v1, v0, 10, 10
	s_mov_b64 s[0:1], src_shared_base
	s_load_b128 s[4:7], s[2:3], 0x60
	v_and_b32_e32 v8, 0x3ff, v0
	v_bfe_u32 v0, v0, 20, 10
	s_waitcnt lgkmcnt(0)
	s_bitcmp1_b32 s18, 0
	v_mul_u32_u24_e32 v1, s13, v1
	s_cselect_b32 s0, -1, 0
	v_mov_b32_e32 v12, s11
	s_and_b32 vcc_lo, s0, exec_lo
	s_cselect_b32 s1, s1, s9
	s_lshr_b32 s12, s12, 16
	v_dual_mov_b32 v2, s4 :: v_dual_mov_b32 v11, s10
	s_mul_i32 s12, s12, s13
	v_mov_b32_e32 v5, s1
	v_mad_u32_u24 v1, s12, v8, v1
	s_xor_b32 s1, s0, -1
	v_mov_b32_e32 v3, s5
	s_delay_alu instid0(VALU_DEP_2)
	v_add_lshl_u32 v6, v1, v0, 3
	v_dual_mov_b32 v0, s8 :: v_dual_mov_b32 v1, s9
	scratch_store_b64 off, v[2:3], off
	v_add_nc_u32_e32 v4, 0xd00, v6
	ds_store_b64 v6, v[0:1] offset:3328
	v_cndmask_b32_e64 v4, s8, v4, s0
	flat_load_b64 v[9:10], v[4:5]
	s_cbranch_vccnz .LBB64_2
; %bb.1:
	v_dual_mov_b32 v0, s8 :: v_dual_mov_b32 v1, s9
	flat_load_b64 v[11:12], v[0:1] offset:8
.LBB64_2:
	s_mov_b64 s[8:9], src_private_base
	s_and_b32 s8, s0, exec_lo
	s_cselect_b32 s8, s9, s5
	s_delay_alu instid0(SALU_CYCLE_1) | instskip(SKIP_2) | instid1(VALU_DEP_2)
	v_dual_mov_b32 v0, 0 :: v_dual_mov_b32 v1, s8
	v_dual_mov_b32 v16, s7 :: v_dual_mov_b32 v15, s6
	s_and_not1_b32 vcc_lo, exec_lo, s1
	v_cndmask_b32_e64 v0, s4, v0, s0
	flat_load_b64 v[13:14], v[0:1]
	s_cbranch_vccnz .LBB64_4
; %bb.3:
	v_dual_mov_b32 v0, s4 :: v_dual_mov_b32 v1, s5
	flat_load_b64 v[15:16], v[0:1] offset:8
.LBB64_4:
	s_waitcnt vmcnt(1) lgkmcnt(1)
	v_cmp_eq_f64_e32 vcc_lo, 0, v[9:10]
	v_cmp_eq_f64_e64 s0, 0, v[11:12]
	s_delay_alu instid0(VALU_DEP_1)
	s_and_b32 s4, vcc_lo, s0
	s_mov_b32 s0, -1
	s_and_saveexec_b32 s1, s4
	s_cbranch_execz .LBB64_6
; %bb.5:
	s_waitcnt vmcnt(0) lgkmcnt(0)
	v_cmp_neq_f64_e32 vcc_lo, 1.0, v[13:14]
	v_cmp_neq_f64_e64 s0, 0, v[15:16]
	s_delay_alu instid0(VALU_DEP_1) | instskip(NEXT) | instid1(SALU_CYCLE_1)
	s_or_b32 s0, vcc_lo, s0
	s_or_not1_b32 s0, s0, exec_lo
.LBB64_6:
	s_or_b32 exec_lo, exec_lo, s1
	s_and_saveexec_b32 s1, s0
	s_cbranch_execz .LBB64_33
; %bb.7:
	s_clause 0x1
	s_load_b32 s0, s[2:3], 0xa4
	s_load_b128 s[20:23], s[2:3], 0x0
	s_waitcnt lgkmcnt(0)
	s_and_b32 s0, s0, 0xffff
	s_delay_alu instid0(SALU_CYCLE_1) | instskip(NEXT) | instid1(VALU_DEP_1)
	v_mad_u64_u32 v[0:1], null, s15, s0, v[8:9]
	v_lshrrev_b32_e32 v1, 7, v0
	s_delay_alu instid0(VALU_DEP_1)
	v_cmp_gt_i32_e32 vcc_lo, s21, v1
	s_and_b32 exec_lo, exec_lo, vcc_lo
	s_cbranch_execz .LBB64_33
; %bb.8:
	s_cmp_lt_i32 s22, 1
	s_cbranch_scc1 .LBB64_33
; %bb.9:
	s_load_b128 s[12:15], s[2:3], 0x70
	v_lshrrev_b32_e32 v7, 6, v0
	s_load_b256 s[4:11], s[2:3], 0x30
	s_waitcnt vmcnt(0)
	v_cmp_neq_f64_e32 vcc_lo, 0, v[13:14]
	v_cmp_neq_f64_e64 s0, 0, v[15:16]
	s_load_b64 s[2:3], s[2:3], 0x50
	v_bfe_u32 v0, v0, 6, 1
	v_lshl_or_b32 v32, v8, 2, 0xc00
	s_waitcnt lgkmcnt(0)
	v_mad_u64_u32 v[5:6], null, v7, s14, 0
	s_delay_alu instid0(VALU_DEP_1) | instskip(SKIP_2) | instid1(VALU_DEP_3)
	v_mad_u64_u32 v[17:18], null, v7, s15, v[6:7]
	v_lshlrev_b32_e32 v1, 3, v1
	v_mul_u32_u24_e32 v18, 3, v8
	v_dual_mov_b32 v6, v17 :: v_dual_lshlrev_b32 v7, 4, v7
	global_load_b128 v[1:4], v1, s[4:5]
	v_lshlrev_b32_e32 v33, 4, v18
	v_add_co_u32 v36, s4, s12, v7
	v_lshlrev_b64 v[5:6], 4, v[5:6]
	s_or_b32 s18, vcc_lo, s0
	s_cmp_lg_u32 s16, 1
	v_add_co_ci_u32_e64 v37, null, s13, 0, s4
	s_cselect_b32 s16, -1, 0
	s_cmp_eq_u32 s20, 0
	v_add_co_u32 v34, vcc_lo, s12, v5
	s_cselect_b32 s1, -1, 0
	v_add_co_ci_u32_e32 v35, vcc_lo, s13, v6, vcc_lo
	v_cndmask_b32_e64 v21, 0, 1, s1
	v_mov_b32_e32 v31, 0
	s_and_b32 s1, s1, exec_lo
	s_mov_b32 s12, 0
	s_cselect_b32 s13, 1, 2
	v_lshlrev_b32_e32 v38, v21, v0
	s_waitcnt vmcnt(0)
	v_sub_co_u32 v17, vcc_lo, v1, s17
	v_subrev_co_ci_u32_e32 v18, vcc_lo, 0, v2, vcc_lo
	v_sub_co_u32 v19, vcc_lo, v3, s17
	v_cmp_lt_i64_e64 s0, v[1:2], v[3:4]
	v_subrev_co_ci_u32_e32 v20, vcc_lo, 0, v4, vcc_lo
	s_branch .LBB64_11
.LBB64_10:                              ;   in Loop: Header=BB64_11 Depth=1
	s_or_b32 exec_lo, exec_lo, s1
	s_add_i32 s12, s12, 64
	s_delay_alu instid0(SALU_CYCLE_1)
	s_cmp_lt_i32 s12, s22
	s_cbranch_scc0 .LBB64_33
.LBB64_11:                              ; =>This Loop Header: Depth=1
                                        ;     Child Loop BB64_14 Depth 2
                                        ;       Child Loop BB64_20 Depth 3
	v_mov_b32_e32 v23, 0
	v_or_b32_e32 v21, s12, v8
	v_mov_b32_e32 v24, 0
	s_delay_alu instid0(VALU_DEP_2) | instskip(NEXT) | instid1(VALU_DEP_2)
	v_ashrrev_i32_e32 v22, 31, v21
	v_dual_mov_b32 v26, v24 :: v_dual_mov_b32 v25, v23
	s_and_saveexec_b32 s19, s0
	s_cbranch_execz .LBB64_22
; %bb.12:                               ;   in Loop: Header=BB64_11 Depth=1
	s_delay_alu instid0(VALU_DEP_2) | instskip(SKIP_3) | instid1(VALU_DEP_4)
	v_lshlrev_b64 v[0:1], 4, v[21:22]
	v_dual_mov_b32 v23, 0 :: v_dual_mov_b32 v28, v18
	v_dual_mov_b32 v24, 0 :: v_dual_mov_b32 v27, v17
	v_cmp_gt_i32_e32 vcc_lo, s22, v21
	v_add_co_u32 v39, s1, s10, v0
	s_delay_alu instid0(VALU_DEP_1) | instskip(NEXT) | instid1(VALU_DEP_4)
	v_add_co_ci_u32_e64 v40, s1, s11, v1, s1
	v_dual_mov_b32 v26, v24 :: v_dual_mov_b32 v25, v23
	s_mov_b32 s20, 0
	s_branch .LBB64_14
.LBB64_13:                              ;   in Loop: Header=BB64_14 Depth=2
	s_or_b32 exec_lo, exec_lo, s4
	v_add_co_u32 v27, s1, v27, 64
	s_delay_alu instid0(VALU_DEP_1) | instskip(NEXT) | instid1(VALU_DEP_1)
	v_add_co_ci_u32_e64 v28, s1, 0, v28, s1
	v_cmp_ge_i64_e64 s1, v[27:28], v[19:20]
	s_delay_alu instid0(VALU_DEP_1) | instskip(NEXT) | instid1(SALU_CYCLE_1)
	s_or_b32 s20, s1, s20
	s_and_not1_b32 exec_lo, exec_lo, s20
	s_cbranch_execz .LBB64_21
.LBB64_14:                              ;   Parent Loop BB64_11 Depth=1
                                        ; =>  This Loop Header: Depth=2
                                        ;       Child Loop BB64_20 Depth 3
	v_add_co_u32 v29, s1, v27, v8
	s_delay_alu instid0(VALU_DEP_1) | instskip(NEXT) | instid1(VALU_DEP_1)
	v_add_co_ci_u32_e64 v30, s1, 0, v28, s1
                                        ; implicit-def: $sgpr4_sgpr5
	v_cmp_ge_i64_e64 s1, v[29:30], v[19:20]
	s_delay_alu instid0(VALU_DEP_1) | instskip(NEXT) | instid1(SALU_CYCLE_1)
	s_and_saveexec_b32 s21, s1
	s_xor_b32 s1, exec_lo, s21
	s_cbranch_execz .LBB64_16
; %bb.15:                               ;   in Loop: Header=BB64_14 Depth=2
	s_mov_b64 s[4:5], 0
	ds_store_b32 v32, v31
                                        ; implicit-def: $vgpr29_vgpr30
.LBB64_16:                              ;   in Loop: Header=BB64_14 Depth=2
	s_or_saveexec_b32 s21, s1
	v_dual_mov_b32 v4, s4 :: v_dual_mov_b32 v5, s5
	v_dual_mov_b32 v7, s5 :: v_dual_mov_b32 v6, s4
	;; [unrolled: 1-line block ×4, first 2 shown]
	s_xor_b32 exec_lo, exec_lo, s21
	s_cbranch_execz .LBB64_18
; %bb.17:                               ;   in Loop: Header=BB64_14 Depth=2
	v_lshlrev_b64 v[0:1], 2, v[29:30]
	s_delay_alu instid0(VALU_DEP_1) | instskip(NEXT) | instid1(VALU_DEP_2)
	v_or_b32_e32 v3, 0, v1
	v_or_b32_e32 v2, v0, v38
	v_add_co_u32 v0, s1, s6, v0
	s_delay_alu instid0(VALU_DEP_1) | instskip(NEXT) | instid1(VALU_DEP_4)
	v_add_co_ci_u32_e64 v1, s1, s7, v1, s1
	v_or_b32_e32 v5, 0, v3
	s_delay_alu instid0(VALU_DEP_4) | instskip(SKIP_4) | instid1(VALU_DEP_1)
	v_or_b32_e32 v4, s13, v2
	v_lshlrev_b64 v[2:3], 4, v[2:3]
	global_load_b32 v29, v[0:1], off
	v_lshlrev_b64 v[0:1], 4, v[4:5]
	v_add_co_u32 v2, s1, s8, v2
	v_add_co_ci_u32_e64 v3, s1, s9, v3, s1
	s_delay_alu instid0(VALU_DEP_3) | instskip(NEXT) | instid1(VALU_DEP_1)
	v_add_co_u32 v0, s1, s8, v0
	v_add_co_ci_u32_e64 v1, s1, s9, v1, s1
	s_clause 0x1
	global_load_b128 v[4:7], v[2:3], off
	global_load_b128 v[0:3], v[0:1], off
	s_waitcnt vmcnt(2)
	v_subrev_nc_u32_e32 v29, s17, v29
	s_delay_alu instid0(VALU_DEP_1)
	v_lshlrev_b32_e32 v29, 1, v29
	ds_store_b32 v32, v29
.LBB64_18:                              ;   in Loop: Header=BB64_14 Depth=2
	s_or_b32 exec_lo, exec_lo, s21
	s_waitcnt vmcnt(1)
	ds_store_b128 v33, v[4:7]
	s_waitcnt vmcnt(0)
	ds_store_b128 v33, v[0:3] offset:16
	s_waitcnt lgkmcnt(0)
	s_waitcnt_vscnt null, 0x0
	s_barrier
	buffer_gl0_inv
	s_and_saveexec_b32 s4, vcc_lo
	s_cbranch_execz .LBB64_13
; %bb.19:                               ;   in Loop: Header=BB64_14 Depth=2
	v_mov_b32_e32 v0, 0
	s_mov_b32 s5, 0
.LBB64_20:                              ;   Parent Loop BB64_11 Depth=1
                                        ;     Parent Loop BB64_14 Depth=2
                                        ; =>    This Inner Loop Header: Depth=3
	s_delay_alu instid0(SALU_CYCLE_1) | instskip(SKIP_1) | instid1(SALU_CYCLE_1)
	v_add_nc_u32_e64 v1, 0xc00, s5
	s_add_i32 s5, s5, 8
	s_cmpk_lg_i32 s5, 0x100
	ds_load_b64 v[5:6], v1
	s_waitcnt lgkmcnt(0)
	v_ashrrev_i32_e32 v3, 31, v5
	v_mul_lo_u32 v4, v5, s3
	v_mad_u64_u32 v[1:2], null, v5, s2, 0
	v_add_nc_u32_e32 v5, 1, v5
	s_delay_alu instid0(VALU_DEP_4) | instskip(NEXT) | instid1(VALU_DEP_2)
	v_mul_lo_u32 v3, v3, s2
	v_ashrrev_i32_e32 v7, 31, v5
	v_mul_lo_u32 v41, v5, s3
	v_mad_u64_u32 v[29:30], null, v5, s2, 0
	s_delay_alu instid0(VALU_DEP_4) | instskip(NEXT) | instid1(VALU_DEP_4)
	v_add3_u32 v2, v2, v4, v3
	v_mul_lo_u32 v5, v7, s2
	v_mul_lo_u32 v7, v6, s3
	s_delay_alu instid0(VALU_DEP_3) | instskip(NEXT) | instid1(VALU_DEP_3)
	v_lshlrev_b64 v[1:2], 4, v[1:2]
	v_add3_u32 v30, v30, v41, v5
	v_ashrrev_i32_e32 v5, 31, v6
	s_delay_alu instid0(VALU_DEP_3) | instskip(NEXT) | instid1(VALU_DEP_1)
	v_add_co_u32 v1, s1, v39, v1
	v_add_co_ci_u32_e64 v2, s1, v40, v2, s1
	s_delay_alu instid0(VALU_DEP_4) | instskip(NEXT) | instid1(VALU_DEP_4)
	v_lshlrev_b64 v[29:30], 4, v[29:30]
	v_mul_lo_u32 v5, v5, s2
	global_load_b128 v[1:4], v[1:2], off
	v_add_co_u32 v29, s1, v39, v29
	s_delay_alu instid0(VALU_DEP_1) | instskip(SKIP_2) | instid1(VALU_DEP_1)
	v_add_co_ci_u32_e64 v30, s1, v40, v30, s1
	global_load_b128 v[41:44], v[29:30], off
	v_mad_u64_u32 v[29:30], null, v6, s2, 0
	v_add3_u32 v30, v30, v7, v5
	v_add_nc_u32_e32 v7, 1, v6
	s_delay_alu instid0(VALU_DEP_2) | instskip(NEXT) | instid1(VALU_DEP_2)
	v_lshlrev_b64 v[29:30], 4, v[29:30]
	v_mad_u64_u32 v[5:6], null, v7, s2, 0
	s_delay_alu instid0(VALU_DEP_2) | instskip(NEXT) | instid1(VALU_DEP_1)
	v_add_co_u32 v29, s1, v39, v29
	v_add_co_ci_u32_e64 v30, s1, v40, v30, s1
	global_load_b128 v[45:48], v[29:30], off
	v_ashrrev_i32_e32 v29, 31, v7
	v_mul_lo_u32 v30, v7, s3
	s_delay_alu instid0(VALU_DEP_2) | instskip(NEXT) | instid1(VALU_DEP_1)
	v_mul_lo_u32 v7, v29, s2
	v_add3_u32 v6, v6, v30, v7
	s_delay_alu instid0(VALU_DEP_1) | instskip(NEXT) | instid1(VALU_DEP_1)
	v_lshlrev_b64 v[5:6], 4, v[5:6]
	v_add_co_u32 v5, s1, v39, v5
	s_delay_alu instid0(VALU_DEP_1)
	v_add_co_ci_u32_e64 v6, s1, v40, v6, s1
	global_load_b128 v[49:52], v[5:6], off
	ds_load_b128 v[53:56], v0
	ds_load_b128 v[57:60], v0 offset:16
	s_waitcnt vmcnt(3) lgkmcnt(1)
	v_fma_f64 v[5:6], v[53:54], v[1:2], v[25:26]
	v_fma_f64 v[1:2], v[55:56], v[1:2], v[23:24]
	s_delay_alu instid0(VALU_DEP_2) | instskip(NEXT) | instid1(VALU_DEP_2)
	v_fma_f64 v[5:6], -v[55:56], v[3:4], v[5:6]
	v_fma_f64 v[1:2], v[53:54], v[3:4], v[1:2]
	s_waitcnt vmcnt(2) lgkmcnt(0)
	s_delay_alu instid0(VALU_DEP_2) | instskip(NEXT) | instid1(VALU_DEP_2)
	v_fma_f64 v[3:4], v[57:58], v[41:42], v[5:6]
	v_fma_f64 v[1:2], v[59:60], v[41:42], v[1:2]
	s_delay_alu instid0(VALU_DEP_2) | instskip(NEXT) | instid1(VALU_DEP_2)
	v_fma_f64 v[5:6], -v[59:60], v[43:44], v[3:4]
	v_fma_f64 v[29:30], v[57:58], v[43:44], v[1:2]
	ds_load_b128 v[1:4], v0 offset:48
	ds_load_b128 v[23:26], v0 offset:64
	v_add_nc_u32_e32 v0, 0x60, v0
	s_waitcnt vmcnt(1) lgkmcnt(1)
	v_fma_f64 v[5:6], v[1:2], v[45:46], v[5:6]
	v_fma_f64 v[29:30], v[3:4], v[45:46], v[29:30]
	s_delay_alu instid0(VALU_DEP_2) | instskip(NEXT) | instid1(VALU_DEP_2)
	v_fma_f64 v[3:4], -v[3:4], v[47:48], v[5:6]
	v_fma_f64 v[1:2], v[1:2], v[47:48], v[29:30]
	s_waitcnt vmcnt(0) lgkmcnt(0)
	s_delay_alu instid0(VALU_DEP_2) | instskip(NEXT) | instid1(VALU_DEP_2)
	v_fma_f64 v[3:4], v[23:24], v[49:50], v[3:4]
	v_fma_f64 v[1:2], v[25:26], v[49:50], v[1:2]
	s_delay_alu instid0(VALU_DEP_2) | instskip(NEXT) | instid1(VALU_DEP_2)
	v_fma_f64 v[25:26], -v[25:26], v[51:52], v[3:4]
	v_fma_f64 v[23:24], v[23:24], v[51:52], v[1:2]
	s_cbranch_scc1 .LBB64_20
	s_branch .LBB64_13
.LBB64_21:                              ;   in Loop: Header=BB64_11 Depth=1
	s_or_b32 exec_lo, exec_lo, s20
.LBB64_22:                              ;   in Loop: Header=BB64_11 Depth=1
	s_delay_alu instid0(SALU_CYCLE_1) | instskip(NEXT) | instid1(SALU_CYCLE_1)
	s_or_b32 exec_lo, exec_lo, s19
	s_mov_b32 s1, exec_lo
	v_cmpx_gt_i32_e64 s22, v21
	s_cbranch_execz .LBB64_10
; %bb.23:                               ;   in Loop: Header=BB64_11 Depth=1
	s_and_saveexec_b32 s4, s18
	s_delay_alu instid0(SALU_CYCLE_1)
	s_xor_b32 s4, exec_lo, s4
	s_cbranch_execz .LBB64_28
; %bb.24:                               ;   in Loop: Header=BB64_11 Depth=1
	s_and_b32 vcc_lo, exec_lo, s16
	s_mov_b32 s5, -1
	s_cbranch_vccz .LBB64_26
; %bb.25:                               ;   in Loop: Header=BB64_11 Depth=1
	v_lshlrev_b64 v[0:1], 4, v[21:22]
	v_mul_f64 v[6:7], v[23:24], -v[11:12]
	v_mul_f64 v[27:28], v[9:10], v[23:24]
	s_mov_b32 s5, 0
	s_delay_alu instid0(VALU_DEP_3) | instskip(NEXT) | instid1(VALU_DEP_4)
	v_add_co_u32 v4, vcc_lo, v34, v0
	v_add_co_ci_u32_e32 v5, vcc_lo, v35, v1, vcc_lo
	global_load_b128 v[0:3], v[4:5], off
	v_fma_f64 v[6:7], v[9:10], v[25:26], v[6:7]
	v_fma_f64 v[27:28], v[11:12], v[25:26], v[27:28]
	s_waitcnt vmcnt(0)
	s_delay_alu instid0(VALU_DEP_2) | instskip(NEXT) | instid1(VALU_DEP_2)
	v_fma_f64 v[6:7], v[13:14], v[0:1], v[6:7]
	v_fma_f64 v[27:28], v[15:16], v[0:1], v[27:28]
	s_delay_alu instid0(VALU_DEP_2) | instskip(NEXT) | instid1(VALU_DEP_2)
	v_fma_f64 v[0:1], -v[15:16], v[2:3], v[6:7]
	v_fma_f64 v[2:3], v[13:14], v[2:3], v[27:28]
	global_store_b128 v[4:5], v[0:3], off
.LBB64_26:                              ;   in Loop: Header=BB64_11 Depth=1
	s_and_not1_b32 vcc_lo, exec_lo, s5
	s_cbranch_vccnz .LBB64_28
; %bb.27:                               ;   in Loop: Header=BB64_11 Depth=1
	v_mul_lo_u32 v2, v22, s14
	v_mul_lo_u32 v3, v21, s15
	v_mad_u64_u32 v[0:1], null, v21, s14, 0
	v_mul_f64 v[6:7], v[23:24], -v[11:12]
	v_mul_f64 v[21:22], v[9:10], v[23:24]
                                        ; implicit-def: $vgpr23_vgpr24
	s_delay_alu instid0(VALU_DEP_3) | instskip(NEXT) | instid1(VALU_DEP_1)
	v_add3_u32 v1, v1, v3, v2
	v_lshlrev_b64 v[0:1], 4, v[0:1]
	s_delay_alu instid0(VALU_DEP_1) | instskip(NEXT) | instid1(VALU_DEP_2)
	v_add_co_u32 v4, vcc_lo, v36, v0
	v_add_co_ci_u32_e32 v5, vcc_lo, v37, v1, vcc_lo
	global_load_b128 v[0:3], v[4:5], off
	v_fma_f64 v[6:7], v[9:10], v[25:26], v[6:7]
	v_fma_f64 v[21:22], v[11:12], v[25:26], v[21:22]
                                        ; implicit-def: $vgpr25_vgpr26
	s_waitcnt vmcnt(0)
	s_delay_alu instid0(VALU_DEP_2) | instskip(NEXT) | instid1(VALU_DEP_2)
	v_fma_f64 v[6:7], v[13:14], v[0:1], v[6:7]
	v_fma_f64 v[21:22], v[15:16], v[0:1], v[21:22]
	s_delay_alu instid0(VALU_DEP_2) | instskip(NEXT) | instid1(VALU_DEP_2)
	v_fma_f64 v[0:1], -v[15:16], v[2:3], v[6:7]
	v_fma_f64 v[2:3], v[13:14], v[2:3], v[21:22]
                                        ; implicit-def: $vgpr21
	global_store_b128 v[4:5], v[0:3], off
.LBB64_28:                              ;   in Loop: Header=BB64_11 Depth=1
	s_and_not1_saveexec_b32 s4, s4
	s_cbranch_execz .LBB64_10
; %bb.29:                               ;   in Loop: Header=BB64_11 Depth=1
	v_mul_f64 v[0:1], v[23:24], -v[11:12]
	v_mul_f64 v[2:3], v[9:10], v[23:24]
	s_and_b32 vcc_lo, exec_lo, s16
	s_mov_b32 s4, -1
	s_delay_alu instid0(VALU_DEP_2) | instskip(NEXT) | instid1(VALU_DEP_2)
	v_fma_f64 v[0:1], v[9:10], v[25:26], v[0:1]
	v_fma_f64 v[2:3], v[11:12], v[25:26], v[2:3]
	s_cbranch_vccz .LBB64_31
; %bb.30:                               ;   in Loop: Header=BB64_11 Depth=1
	v_lshlrev_b64 v[4:5], 4, v[21:22]
	s_mov_b32 s4, 0
	s_delay_alu instid0(VALU_DEP_1) | instskip(NEXT) | instid1(VALU_DEP_2)
	v_add_co_u32 v4, vcc_lo, v34, v4
	v_add_co_ci_u32_e32 v5, vcc_lo, v35, v5, vcc_lo
	global_store_b128 v[4:5], v[0:3], off
.LBB64_31:                              ;   in Loop: Header=BB64_11 Depth=1
	s_and_not1_b32 vcc_lo, exec_lo, s4
	s_cbranch_vccnz .LBB64_10
; %bb.32:                               ;   in Loop: Header=BB64_11 Depth=1
	v_mul_lo_u32 v6, v22, s14
	v_mul_lo_u32 v7, v21, s15
	v_mad_u64_u32 v[4:5], null, v21, s14, 0
	s_delay_alu instid0(VALU_DEP_1) | instskip(NEXT) | instid1(VALU_DEP_1)
	v_add3_u32 v5, v5, v7, v6
	v_lshlrev_b64 v[4:5], 4, v[4:5]
	s_delay_alu instid0(VALU_DEP_1) | instskip(NEXT) | instid1(VALU_DEP_2)
	v_add_co_u32 v4, vcc_lo, v36, v4
	v_add_co_ci_u32_e32 v5, vcc_lo, v37, v5, vcc_lo
	global_store_b128 v[4:5], v[0:3], off
	s_branch .LBB64_10
.LBB64_33:
	s_endpgm
	.section	.rodata,"a",@progbits
	.p2align	6, 0x0
	.amdhsa_kernel _ZN9rocsparseL29bsrmmnt_small_blockdim_kernelILj64ELj64ELj2Eli21rocsparse_complex_numIdES2_S2_S2_EEv20rocsparse_direction_T3_S4_llNS_24const_host_device_scalarIT7_EEPKT2_PKS4_PKT4_PKT5_llS7_PT6_ll16rocsparse_order_21rocsparse_index_base_b
		.amdhsa_group_segment_fixed_size 3840
		.amdhsa_private_segment_fixed_size 16
		.amdhsa_kernarg_size 408
		.amdhsa_user_sgpr_count 15
		.amdhsa_user_sgpr_dispatch_ptr 1
		.amdhsa_user_sgpr_queue_ptr 0
		.amdhsa_user_sgpr_kernarg_segment_ptr 1
		.amdhsa_user_sgpr_dispatch_id 0
		.amdhsa_user_sgpr_private_segment_size 0
		.amdhsa_wavefront_size32 1
		.amdhsa_uses_dynamic_stack 0
		.amdhsa_enable_private_segment 1
		.amdhsa_system_sgpr_workgroup_id_x 1
		.amdhsa_system_sgpr_workgroup_id_y 0
		.amdhsa_system_sgpr_workgroup_id_z 0
		.amdhsa_system_sgpr_workgroup_info 0
		.amdhsa_system_vgpr_workitem_id 2
		.amdhsa_next_free_vgpr 61
		.amdhsa_next_free_sgpr 24
		.amdhsa_reserve_vcc 1
		.amdhsa_float_round_mode_32 0
		.amdhsa_float_round_mode_16_64 0
		.amdhsa_float_denorm_mode_32 3
		.amdhsa_float_denorm_mode_16_64 3
		.amdhsa_dx10_clamp 1
		.amdhsa_ieee_mode 1
		.amdhsa_fp16_overflow 0
		.amdhsa_workgroup_processor_mode 1
		.amdhsa_memory_ordered 1
		.amdhsa_forward_progress 0
		.amdhsa_shared_vgpr_count 0
		.amdhsa_exception_fp_ieee_invalid_op 0
		.amdhsa_exception_fp_denorm_src 0
		.amdhsa_exception_fp_ieee_div_zero 0
		.amdhsa_exception_fp_ieee_overflow 0
		.amdhsa_exception_fp_ieee_underflow 0
		.amdhsa_exception_fp_ieee_inexact 0
		.amdhsa_exception_int_div_zero 0
	.end_amdhsa_kernel
	.section	.text._ZN9rocsparseL29bsrmmnt_small_blockdim_kernelILj64ELj64ELj2Eli21rocsparse_complex_numIdES2_S2_S2_EEv20rocsparse_direction_T3_S4_llNS_24const_host_device_scalarIT7_EEPKT2_PKS4_PKT4_PKT5_llS7_PT6_ll16rocsparse_order_21rocsparse_index_base_b,"axG",@progbits,_ZN9rocsparseL29bsrmmnt_small_blockdim_kernelILj64ELj64ELj2Eli21rocsparse_complex_numIdES2_S2_S2_EEv20rocsparse_direction_T3_S4_llNS_24const_host_device_scalarIT7_EEPKT2_PKS4_PKT4_PKT5_llS7_PT6_ll16rocsparse_order_21rocsparse_index_base_b,comdat
.Lfunc_end64:
	.size	_ZN9rocsparseL29bsrmmnt_small_blockdim_kernelILj64ELj64ELj2Eli21rocsparse_complex_numIdES2_S2_S2_EEv20rocsparse_direction_T3_S4_llNS_24const_host_device_scalarIT7_EEPKT2_PKS4_PKT4_PKT5_llS7_PT6_ll16rocsparse_order_21rocsparse_index_base_b, .Lfunc_end64-_ZN9rocsparseL29bsrmmnt_small_blockdim_kernelILj64ELj64ELj2Eli21rocsparse_complex_numIdES2_S2_S2_EEv20rocsparse_direction_T3_S4_llNS_24const_host_device_scalarIT7_EEPKT2_PKS4_PKT4_PKT5_llS7_PT6_ll16rocsparse_order_21rocsparse_index_base_b
                                        ; -- End function
	.section	.AMDGPU.csdata,"",@progbits
; Kernel info:
; codeLenInByte = 2244
; NumSgprs: 26
; NumVgprs: 61
; ScratchSize: 16
; MemoryBound: 1
; FloatMode: 240
; IeeeMode: 1
; LDSByteSize: 3840 bytes/workgroup (compile time only)
; SGPRBlocks: 3
; VGPRBlocks: 7
; NumSGPRsForWavesPerEU: 26
; NumVGPRsForWavesPerEU: 61
; Occupancy: 16
; WaveLimiterHint : 0
; COMPUTE_PGM_RSRC2:SCRATCH_EN: 1
; COMPUTE_PGM_RSRC2:USER_SGPR: 15
; COMPUTE_PGM_RSRC2:TRAP_HANDLER: 0
; COMPUTE_PGM_RSRC2:TGID_X_EN: 1
; COMPUTE_PGM_RSRC2:TGID_Y_EN: 0
; COMPUTE_PGM_RSRC2:TGID_Z_EN: 0
; COMPUTE_PGM_RSRC2:TIDIG_COMP_CNT: 2
	.section	.text._ZN9rocsparseL29bsrmmnt_small_blockdim_kernelILj64ELj8ELj2Ell21rocsparse_complex_numIdES2_S2_S2_EEv20rocsparse_direction_T3_S4_llNS_24const_host_device_scalarIT7_EEPKT2_PKS4_PKT4_PKT5_llS7_PT6_ll16rocsparse_order_21rocsparse_index_base_b,"axG",@progbits,_ZN9rocsparseL29bsrmmnt_small_blockdim_kernelILj64ELj8ELj2Ell21rocsparse_complex_numIdES2_S2_S2_EEv20rocsparse_direction_T3_S4_llNS_24const_host_device_scalarIT7_EEPKT2_PKS4_PKT4_PKT5_llS7_PT6_ll16rocsparse_order_21rocsparse_index_base_b,comdat
	.globl	_ZN9rocsparseL29bsrmmnt_small_blockdim_kernelILj64ELj8ELj2Ell21rocsparse_complex_numIdES2_S2_S2_EEv20rocsparse_direction_T3_S4_llNS_24const_host_device_scalarIT7_EEPKT2_PKS4_PKT4_PKT5_llS7_PT6_ll16rocsparse_order_21rocsparse_index_base_b ; -- Begin function _ZN9rocsparseL29bsrmmnt_small_blockdim_kernelILj64ELj8ELj2Ell21rocsparse_complex_numIdES2_S2_S2_EEv20rocsparse_direction_T3_S4_llNS_24const_host_device_scalarIT7_EEPKT2_PKS4_PKT4_PKT5_llS7_PT6_ll16rocsparse_order_21rocsparse_index_base_b
	.p2align	8
	.type	_ZN9rocsparseL29bsrmmnt_small_blockdim_kernelILj64ELj8ELj2Ell21rocsparse_complex_numIdES2_S2_S2_EEv20rocsparse_direction_T3_S4_llNS_24const_host_device_scalarIT7_EEPKT2_PKS4_PKT4_PKT5_llS7_PT6_ll16rocsparse_order_21rocsparse_index_base_b,@function
_ZN9rocsparseL29bsrmmnt_small_blockdim_kernelILj64ELj8ELj2Ell21rocsparse_complex_numIdES2_S2_S2_EEv20rocsparse_direction_T3_S4_llNS_24const_host_device_scalarIT7_EEPKT2_PKS4_PKT4_PKT5_llS7_PT6_ll16rocsparse_order_21rocsparse_index_base_b: ; @_ZN9rocsparseL29bsrmmnt_small_blockdim_kernelILj64ELj8ELj2Ell21rocsparse_complex_numIdES2_S2_S2_EEv20rocsparse_direction_T3_S4_llNS_24const_host_device_scalarIT7_EEPKT2_PKS4_PKT4_PKT5_llS7_PT6_ll16rocsparse_order_21rocsparse_index_base_b
; %bb.0:
	s_load_b128 s[20:23], s[2:3], 0x90
	s_load_b64 s[12:13], s[0:1], 0x4
	s_load_b128 s[8:11], s[2:3], 0x28
	v_bfe_u32 v2, v0, 10, 10
	s_mov_b64 s[0:1], src_shared_base
	s_load_b128 s[4:7], s[2:3], 0x68
	v_and_b32_e32 v1, 0x3ff, v0
	v_bfe_u32 v0, v0, 20, 10
	s_waitcnt lgkmcnt(0)
	s_bitcmp1_b32 s22, 0
	v_mul_u32_u24_e32 v2, s13, v2
	s_cselect_b32 s0, -1, 0
	v_mov_b32_e32 v10, s10
	s_and_b32 vcc_lo, s0, exec_lo
	s_cselect_b32 s1, s1, s9
	s_lshr_b32 s12, s12, 16
	v_dual_mov_b32 v4, s4 :: v_dual_mov_b32 v5, s5
	s_mul_i32 s12, s12, s13
	v_mov_b32_e32 v7, s1
	v_mad_u32_u24 v2, s12, v1, v2
	v_mov_b32_e32 v11, s11
	scratch_store_b64 off, v[4:5], off
	s_xor_b32 s1, s0, -1
	v_add_lshl_u32 v0, v2, v0, 3
	v_dual_mov_b32 v2, s8 :: v_dual_mov_b32 v3, s9
	s_delay_alu instid0(VALU_DEP_2)
	v_add_nc_u32_e32 v6, 0xe00, v0
	ds_store_b64 v0, v[2:3] offset:3584
	v_cndmask_b32_e64 v6, s8, v6, s0
	flat_load_b64 v[8:9], v[6:7]
	s_cbranch_vccnz .LBB65_2
; %bb.1:
	v_dual_mov_b32 v2, s8 :: v_dual_mov_b32 v3, s9
	flat_load_b64 v[10:11], v[2:3] offset:8
.LBB65_2:
	s_mov_b64 s[8:9], src_private_base
	s_and_b32 s8, s0, exec_lo
	s_cselect_b32 s8, s9, s5
	s_delay_alu instid0(SALU_CYCLE_1) | instskip(SKIP_2) | instid1(VALU_DEP_2)
	v_dual_mov_b32 v0, 0 :: v_dual_mov_b32 v3, s8
	v_dual_mov_b32 v15, s7 :: v_dual_mov_b32 v14, s6
	s_and_not1_b32 vcc_lo, exec_lo, s1
	v_cndmask_b32_e64 v2, s4, v0, s0
	flat_load_b64 v[12:13], v[2:3]
	s_cbranch_vccnz .LBB65_4
; %bb.3:
	v_dual_mov_b32 v2, s4 :: v_dual_mov_b32 v3, s5
	flat_load_b64 v[14:15], v[2:3] offset:8
.LBB65_4:
	s_waitcnt vmcnt(1) lgkmcnt(1)
	v_cmp_eq_f64_e32 vcc_lo, 0, v[8:9]
	v_cmp_eq_f64_e64 s0, 0, v[10:11]
	s_delay_alu instid0(VALU_DEP_1)
	s_and_b32 s4, vcc_lo, s0
	s_mov_b32 s0, -1
	s_and_saveexec_b32 s1, s4
	s_cbranch_execz .LBB65_6
; %bb.5:
	s_waitcnt vmcnt(0) lgkmcnt(0)
	v_cmp_neq_f64_e32 vcc_lo, 1.0, v[12:13]
	v_cmp_neq_f64_e64 s0, 0, v[14:15]
	s_delay_alu instid0(VALU_DEP_1) | instskip(NEXT) | instid1(SALU_CYCLE_1)
	s_or_b32 s0, vcc_lo, s0
	s_or_not1_b32 s0, s0, exec_lo
.LBB65_6:
	s_or_b32 exec_lo, exec_lo, s1
	s_and_saveexec_b32 s1, s0
	s_cbranch_execz .LBB65_33
; %bb.7:
	s_clause 0x1
	s_load_b32 s0, s[2:3], 0xac
	s_load_b128 s[16:19], s[2:3], 0x8
	v_mov_b32_e32 v4, 0
	s_waitcnt lgkmcnt(0)
	s_and_b32 s0, s0, 0xffff
	s_delay_alu instid0(SALU_CYCLE_1) | instskip(NEXT) | instid1(VALU_DEP_1)
	v_mad_u64_u32 v[2:3], null, s15, s0, v[1:2]
	v_lshrrev_b32_e32 v3, 4, v2
	s_delay_alu instid0(VALU_DEP_1)
	v_cmp_gt_i64_e32 vcc_lo, s[16:17], v[3:4]
	s_and_b32 exec_lo, exec_lo, vcc_lo
	s_cbranch_execz .LBB65_33
; %bb.8:
	v_cmp_lt_i64_e64 s0, s[18:19], 1
	s_delay_alu instid0(VALU_DEP_1)
	s_and_b32 vcc_lo, exec_lo, s0
	s_cbranch_vccnz .LBB65_33
; %bb.9:
	s_load_b256 s[4:11], s[2:3], 0x38
	v_mov_b32_e32 v16, 0
	v_lshlrev_b32_e32 v0, 3, v3
	v_and_b32_e32 v34, 7, v1
	v_lshrrev_b32_e32 v7, 3, v1
	s_load_b128 s[12:15], s[2:3], 0x78
	v_mov_b32_e32 v1, v16
	s_waitcnt vmcnt(0)
	v_cmp_neq_f64_e32 vcc_lo, 0, v[12:13]
	v_cmp_neq_f64_e64 s0, 0, v[14:15]
	s_load_b32 s1, s[2:3], 0x0
	v_bfe_u32 v19, v2, 3, 1
	v_mov_b32_e32 v20, v16
	v_lshl_or_b32 v35, v7, 6, 0xc00
	v_mul_u32_u24_e32 v36, 0x180, v7
	s_mov_b32 s22, s21
	s_delay_alu instid0(VALU_DEP_2)
	v_lshl_or_b32 v37, v34, 3, v35
	s_waitcnt lgkmcnt(0)
	global_load_b128 v[3:6], v0, s[4:5]
	s_load_b64 s[4:5], s[2:3], 0x58
	v_lshrrev_b32_e32 v0, 3, v2
	s_mov_b64 s[2:3], 0
	s_delay_alu instid0(VALU_DEP_1) | instskip(NEXT) | instid1(VALU_DEP_1)
	v_mad_u64_u32 v[17:18], null, v0, s14, 0
	v_mov_b32_e32 v2, v18
	s_or_b32 s23, vcc_lo, s0
	s_cmp_lg_u32 s20, 1
	s_cselect_b32 s20, -1, 0
	s_cmp_eq_u32 s1, 0
	s_cselect_b32 s1, -1, 0
	s_delay_alu instid0(SALU_CYCLE_1)
	v_cndmask_b32_e64 v23, 0, 1, s1
	s_and_b32 s1, s1, exec_lo
	s_waitcnt vmcnt(0)
	v_mad_u64_u32 v[21:22], null, v0, s15, v[2:3]
	v_mul_u32_u24_e32 v2, 3, v34
	v_lshlrev_b64 v[0:1], 4, v[0:1]
	v_cmp_lt_i64_e64 s0, v[3:4], v[5:6]
	s_delay_alu instid0(VALU_DEP_3) | instskip(SKIP_1) | instid1(VALU_DEP_2)
	v_lshlrev_b32_e32 v2, 4, v2
	v_mov_b32_e32 v18, v21
	v_mad_u32_u24 v38, 0x180, v7, v2
	s_delay_alu instid0(VALU_DEP_2) | instskip(SKIP_1) | instid1(VALU_DEP_2)
	v_lshlrev_b64 v[21:22], 4, v[17:18]
	v_lshlrev_b64 v[18:19], v23, v[19:20]
	v_add_co_u32 v39, vcc_lo, s12, v21
	s_delay_alu instid0(VALU_DEP_3)
	v_add_co_ci_u32_e32 v40, vcc_lo, s13, v22, vcc_lo
	v_sub_co_u32 v20, vcc_lo, v3, s21
	v_subrev_co_ci_u32_e32 v21, vcc_lo, 0, v4, vcc_lo
	v_sub_co_u32 v22, vcc_lo, v5, s21
	v_subrev_co_ci_u32_e32 v23, vcc_lo, 0, v6, vcc_lo
	v_add_co_u32 v41, vcc_lo, s12, v0
	v_add_co_ci_u32_e32 v42, vcc_lo, s13, v1, vcc_lo
	s_cselect_b32 s21, 1, 2
	s_waitcnt lgkmcnt(0)
	s_lshl_b64 s[12:13], s[4:5], 4
	s_branch .LBB65_11
.LBB65_10:                              ;   in Loop: Header=BB65_11 Depth=1
	s_or_b32 exec_lo, exec_lo, s1
	s_add_u32 s2, s2, 8
	s_addc_u32 s3, s3, 0
	s_delay_alu instid0(SALU_CYCLE_1) | instskip(NEXT) | instid1(VALU_DEP_1)
	v_cmp_lt_i64_e64 s1, s[2:3], s[18:19]
	s_and_b32 vcc_lo, exec_lo, s1
	s_cbranch_vccz .LBB65_33
.LBB65_11:                              ; =>This Loop Header: Depth=1
                                        ;     Child Loop BB65_14 Depth 2
                                        ;       Child Loop BB65_20 Depth 3
	v_mov_b32_e32 v26, 0
	v_mov_b32_e32 v27, 0
	v_or_b32_e64 v25, s3, 0
	v_or_b32_e32 v24, s2, v34
	s_delay_alu instid0(VALU_DEP_3)
	v_dual_mov_b32 v29, v27 :: v_dual_mov_b32 v28, v26
	s_and_saveexec_b32 s24, s0
	s_cbranch_execz .LBB65_22
; %bb.12:                               ;   in Loop: Header=BB65_11 Depth=1
	s_delay_alu instid0(VALU_DEP_2) | instskip(SKIP_3) | instid1(VALU_DEP_4)
	v_lshlrev_b64 v[0:1], 4, v[24:25]
	v_dual_mov_b32 v26, 0 :: v_dual_mov_b32 v31, v21
	v_dual_mov_b32 v27, 0 :: v_dual_mov_b32 v30, v20
	v_cmp_gt_i64_e32 vcc_lo, s[18:19], v[24:25]
	v_add_co_u32 v43, s1, s10, v0
	s_delay_alu instid0(VALU_DEP_1) | instskip(NEXT) | instid1(VALU_DEP_4)
	v_add_co_ci_u32_e64 v44, s1, s11, v1, s1
	v_dual_mov_b32 v29, v27 :: v_dual_mov_b32 v28, v26
	s_mov_b32 s25, 0
	s_branch .LBB65_14
.LBB65_13:                              ;   in Loop: Header=BB65_14 Depth=2
	s_or_b32 exec_lo, exec_lo, s16
	v_add_co_u32 v30, s1, v30, 8
	s_delay_alu instid0(VALU_DEP_1) | instskip(NEXT) | instid1(VALU_DEP_1)
	v_add_co_ci_u32_e64 v31, s1, 0, v31, s1
	v_cmp_ge_i64_e64 s1, v[30:31], v[22:23]
	s_delay_alu instid0(VALU_DEP_1) | instskip(NEXT) | instid1(SALU_CYCLE_1)
	s_or_b32 s25, s1, s25
	s_and_not1_b32 exec_lo, exec_lo, s25
	s_cbranch_execz .LBB65_21
.LBB65_14:                              ;   Parent Loop BB65_11 Depth=1
                                        ; =>  This Loop Header: Depth=2
                                        ;       Child Loop BB65_20 Depth 3
	v_add_co_u32 v32, s1, v30, v34
	s_delay_alu instid0(VALU_DEP_1) | instskip(NEXT) | instid1(VALU_DEP_1)
	v_add_co_ci_u32_e64 v33, s1, 0, v31, s1
                                        ; implicit-def: $sgpr16_sgpr17
	v_cmp_ge_i64_e64 s1, v[32:33], v[22:23]
	s_delay_alu instid0(VALU_DEP_1) | instskip(NEXT) | instid1(SALU_CYCLE_1)
	s_and_saveexec_b32 s26, s1
	s_xor_b32 s1, exec_lo, s26
	s_cbranch_execz .LBB65_16
; %bb.15:                               ;   in Loop: Header=BB65_14 Depth=2
	v_mov_b32_e32 v17, v16
	s_mov_b64 s[16:17], 0
                                        ; implicit-def: $vgpr32_vgpr33
	ds_store_b64 v37, v[16:17]
.LBB65_16:                              ;   in Loop: Header=BB65_14 Depth=2
	s_or_saveexec_b32 s26, s1
	v_dual_mov_b32 v4, s16 :: v_dual_mov_b32 v5, s17
	v_dual_mov_b32 v6, s16 :: v_dual_mov_b32 v7, s17
	;; [unrolled: 1-line block ×4, first 2 shown]
	s_xor_b32 exec_lo, exec_lo, s26
	s_cbranch_execz .LBB65_18
; %bb.17:                               ;   in Loop: Header=BB65_14 Depth=2
	v_lshlrev_b64 v[0:1], 2, v[32:33]
	v_lshlrev_b64 v[2:3], 3, v[32:33]
	s_delay_alu instid0(VALU_DEP_2) | instskip(NEXT) | instid1(VALU_DEP_3)
	v_or_b32_e32 v1, v1, v19
	v_or_b32_e32 v0, v0, v18
	s_delay_alu instid0(VALU_DEP_3) | instskip(NEXT) | instid1(VALU_DEP_1)
	v_add_co_u32 v2, s1, s6, v2
	v_add_co_ci_u32_e64 v3, s1, s7, v3, s1
	s_delay_alu instid0(VALU_DEP_4) | instskip(NEXT) | instid1(VALU_DEP_4)
	v_or_b32_e32 v5, 0, v1
	v_or_b32_e32 v4, s21, v0
	v_lshlrev_b64 v[0:1], 4, v[0:1]
	global_load_b64 v[32:33], v[2:3], off
	v_lshlrev_b64 v[2:3], 4, v[4:5]
	v_add_co_u32 v0, s1, s8, v0
	s_delay_alu instid0(VALU_DEP_1) | instskip(NEXT) | instid1(VALU_DEP_3)
	v_add_co_ci_u32_e64 v1, s1, s9, v1, s1
	v_add_co_u32 v2, s1, s8, v2
	s_delay_alu instid0(VALU_DEP_1)
	v_add_co_ci_u32_e64 v3, s1, s9, v3, s1
	s_clause 0x1
	global_load_b128 v[4:7], v[0:1], off
	global_load_b128 v[0:3], v[2:3], off
	s_waitcnt vmcnt(2)
	v_sub_co_u32 v32, s1, v32, s22
	s_delay_alu instid0(VALU_DEP_1) | instskip(NEXT) | instid1(VALU_DEP_1)
	v_subrev_co_ci_u32_e64 v33, s1, 0, v33, s1
	v_lshlrev_b64 v[32:33], 1, v[32:33]
	ds_store_b64 v37, v[32:33]
.LBB65_18:                              ;   in Loop: Header=BB65_14 Depth=2
	s_or_b32 exec_lo, exec_lo, s26
	s_waitcnt vmcnt(1)
	ds_store_b128 v38, v[4:7]
	s_waitcnt vmcnt(0)
	ds_store_b128 v38, v[0:3] offset:16
	s_waitcnt lgkmcnt(0)
	s_waitcnt_vscnt null, 0x0
	s_barrier
	buffer_gl0_inv
	s_and_saveexec_b32 s16, vcc_lo
	s_cbranch_execz .LBB65_13
; %bb.19:                               ;   in Loop: Header=BB65_14 Depth=2
	v_mov_b32_e32 v0, v36
	s_mov_b32 s17, 0
.LBB65_20:                              ;   Parent Loop BB65_11 Depth=1
                                        ;     Parent Loop BB65_14 Depth=2
                                        ; =>    This Inner Loop Header: Depth=3
	s_delay_alu instid0(SALU_CYCLE_1) | instskip(SKIP_1) | instid1(SALU_CYCLE_1)
	v_add_nc_u32_e32 v1, s17, v35
	s_add_i32 s17, s17, 16
	s_cmp_lg_u32 s17, 64
	ds_load_b128 v[1:4], v1
	s_waitcnt lgkmcnt(0)
	v_mul_lo_u32 v2, v2, s4
	v_mul_lo_u32 v7, v1, s5
	v_mad_u64_u32 v[5:6], null, v1, s4, 0
	v_mul_lo_u32 v4, v4, s4
	s_delay_alu instid0(VALU_DEP_2) | instskip(NEXT) | instid1(VALU_DEP_1)
	v_add3_u32 v6, v6, v7, v2
	v_lshlrev_b64 v[1:2], 4, v[5:6]
	v_mul_lo_u32 v5, v3, s5
	s_delay_alu instid0(VALU_DEP_2) | instskip(NEXT) | instid1(VALU_DEP_1)
	v_add_co_u32 v1, s1, v43, v1
	v_add_co_ci_u32_e64 v2, s1, v44, v2, s1
	global_load_b128 v[45:48], v[1:2], off
	v_add_co_u32 v1, s1, v1, s12
	s_delay_alu instid0(VALU_DEP_1) | instskip(SKIP_2) | instid1(VALU_DEP_1)
	v_add_co_ci_u32_e64 v2, s1, s13, v2, s1
	global_load_b128 v[49:52], v[1:2], off
	v_mad_u64_u32 v[1:2], null, v3, s4, 0
	v_add3_u32 v2, v2, v5, v4
	s_delay_alu instid0(VALU_DEP_1) | instskip(NEXT) | instid1(VALU_DEP_1)
	v_lshlrev_b64 v[1:2], 4, v[1:2]
	v_add_co_u32 v5, s1, v43, v1
	s_delay_alu instid0(VALU_DEP_1) | instskip(SKIP_2) | instid1(VALU_DEP_1)
	v_add_co_ci_u32_e64 v6, s1, v44, v2, s1
	global_load_b128 v[1:4], v[5:6], off
	v_add_co_u32 v5, s1, v5, s12
	v_add_co_ci_u32_e64 v6, s1, s13, v6, s1
	global_load_b128 v[53:56], v[5:6], off
	ds_load_b128 v[57:60], v0
	ds_load_b128 v[61:64], v0 offset:16
	s_waitcnt vmcnt(3) lgkmcnt(1)
	v_fma_f64 v[5:6], v[57:58], v[45:46], v[28:29]
	v_fma_f64 v[26:27], v[59:60], v[45:46], v[26:27]
	s_delay_alu instid0(VALU_DEP_2) | instskip(NEXT) | instid1(VALU_DEP_2)
	v_fma_f64 v[5:6], -v[59:60], v[47:48], v[5:6]
	v_fma_f64 v[26:27], v[57:58], v[47:48], v[26:27]
	s_waitcnt vmcnt(2) lgkmcnt(0)
	s_delay_alu instid0(VALU_DEP_2) | instskip(NEXT) | instid1(VALU_DEP_2)
	v_fma_f64 v[5:6], v[61:62], v[49:50], v[5:6]
	v_fma_f64 v[26:27], v[63:64], v[49:50], v[26:27]
	s_delay_alu instid0(VALU_DEP_2) | instskip(NEXT) | instid1(VALU_DEP_2)
	v_fma_f64 v[5:6], -v[63:64], v[51:52], v[5:6]
	v_fma_f64 v[32:33], v[61:62], v[51:52], v[26:27]
	ds_load_b128 v[26:29], v0 offset:48
	ds_load_b128 v[45:48], v0 offset:64
	v_add_nc_u32_e32 v0, 0x60, v0
	s_waitcnt vmcnt(1) lgkmcnt(1)
	v_fma_f64 v[5:6], v[26:27], v[1:2], v[5:6]
	v_fma_f64 v[1:2], v[28:29], v[1:2], v[32:33]
	s_delay_alu instid0(VALU_DEP_2) | instskip(NEXT) | instid1(VALU_DEP_2)
	v_fma_f64 v[5:6], -v[28:29], v[3:4], v[5:6]
	v_fma_f64 v[1:2], v[26:27], v[3:4], v[1:2]
	s_waitcnt vmcnt(0) lgkmcnt(0)
	s_delay_alu instid0(VALU_DEP_2) | instskip(NEXT) | instid1(VALU_DEP_2)
	v_fma_f64 v[3:4], v[45:46], v[53:54], v[5:6]
	v_fma_f64 v[1:2], v[47:48], v[53:54], v[1:2]
	s_delay_alu instid0(VALU_DEP_2) | instskip(NEXT) | instid1(VALU_DEP_2)
	v_fma_f64 v[28:29], -v[47:48], v[55:56], v[3:4]
	v_fma_f64 v[26:27], v[45:46], v[55:56], v[1:2]
	s_cbranch_scc1 .LBB65_20
	s_branch .LBB65_13
.LBB65_21:                              ;   in Loop: Header=BB65_11 Depth=1
	s_or_b32 exec_lo, exec_lo, s25
.LBB65_22:                              ;   in Loop: Header=BB65_11 Depth=1
	s_delay_alu instid0(SALU_CYCLE_1) | instskip(NEXT) | instid1(SALU_CYCLE_1)
	s_or_b32 exec_lo, exec_lo, s24
	s_mov_b32 s1, exec_lo
	v_cmpx_gt_i64_e64 s[18:19], v[24:25]
	s_cbranch_execz .LBB65_10
; %bb.23:                               ;   in Loop: Header=BB65_11 Depth=1
	s_and_saveexec_b32 s16, s23
	s_delay_alu instid0(SALU_CYCLE_1)
	s_xor_b32 s16, exec_lo, s16
	s_cbranch_execz .LBB65_28
; %bb.24:                               ;   in Loop: Header=BB65_11 Depth=1
	s_and_b32 vcc_lo, exec_lo, s20
	s_mov_b32 s17, -1
	s_cbranch_vccz .LBB65_26
; %bb.25:                               ;   in Loop: Header=BB65_11 Depth=1
	v_lshlrev_b64 v[0:1], 4, v[24:25]
	v_mul_f64 v[6:7], v[26:27], -v[10:11]
	v_mul_f64 v[30:31], v[8:9], v[26:27]
	s_mov_b32 s17, 0
	s_delay_alu instid0(VALU_DEP_3) | instskip(NEXT) | instid1(VALU_DEP_4)
	v_add_co_u32 v4, vcc_lo, v39, v0
	v_add_co_ci_u32_e32 v5, vcc_lo, v40, v1, vcc_lo
	global_load_b128 v[0:3], v[4:5], off
	v_fma_f64 v[6:7], v[8:9], v[28:29], v[6:7]
	v_fma_f64 v[30:31], v[10:11], v[28:29], v[30:31]
	s_waitcnt vmcnt(0)
	s_delay_alu instid0(VALU_DEP_2) | instskip(NEXT) | instid1(VALU_DEP_2)
	v_fma_f64 v[6:7], v[12:13], v[0:1], v[6:7]
	v_fma_f64 v[30:31], v[14:15], v[0:1], v[30:31]
	s_delay_alu instid0(VALU_DEP_2) | instskip(NEXT) | instid1(VALU_DEP_2)
	v_fma_f64 v[0:1], -v[14:15], v[2:3], v[6:7]
	v_fma_f64 v[2:3], v[12:13], v[2:3], v[30:31]
	global_store_b128 v[4:5], v[0:3], off
.LBB65_26:                              ;   in Loop: Header=BB65_11 Depth=1
	s_and_not1_b32 vcc_lo, exec_lo, s17
	s_cbranch_vccnz .LBB65_28
; %bb.27:                               ;   in Loop: Header=BB65_11 Depth=1
	v_mul_lo_u32 v2, v25, s14
	v_mul_lo_u32 v3, v24, s15
	v_mad_u64_u32 v[0:1], null, v24, s14, 0
	v_mul_f64 v[6:7], v[26:27], -v[10:11]
	v_mul_f64 v[24:25], v[8:9], v[26:27]
                                        ; implicit-def: $vgpr26_vgpr27
	s_delay_alu instid0(VALU_DEP_3) | instskip(NEXT) | instid1(VALU_DEP_1)
	v_add3_u32 v1, v1, v3, v2
	v_lshlrev_b64 v[0:1], 4, v[0:1]
	s_delay_alu instid0(VALU_DEP_1) | instskip(NEXT) | instid1(VALU_DEP_2)
	v_add_co_u32 v4, vcc_lo, v41, v0
	v_add_co_ci_u32_e32 v5, vcc_lo, v42, v1, vcc_lo
	global_load_b128 v[0:3], v[4:5], off
	v_fma_f64 v[6:7], v[8:9], v[28:29], v[6:7]
	v_fma_f64 v[24:25], v[10:11], v[28:29], v[24:25]
                                        ; implicit-def: $vgpr28_vgpr29
	s_waitcnt vmcnt(0)
	s_delay_alu instid0(VALU_DEP_2) | instskip(NEXT) | instid1(VALU_DEP_2)
	v_fma_f64 v[6:7], v[12:13], v[0:1], v[6:7]
	v_fma_f64 v[24:25], v[14:15], v[0:1], v[24:25]
	s_delay_alu instid0(VALU_DEP_2) | instskip(NEXT) | instid1(VALU_DEP_2)
	v_fma_f64 v[0:1], -v[14:15], v[2:3], v[6:7]
	v_fma_f64 v[2:3], v[12:13], v[2:3], v[24:25]
                                        ; implicit-def: $vgpr24_vgpr25
	global_store_b128 v[4:5], v[0:3], off
.LBB65_28:                              ;   in Loop: Header=BB65_11 Depth=1
	s_and_not1_saveexec_b32 s16, s16
	s_cbranch_execz .LBB65_10
; %bb.29:                               ;   in Loop: Header=BB65_11 Depth=1
	v_mul_f64 v[0:1], v[26:27], -v[10:11]
	v_mul_f64 v[2:3], v[8:9], v[26:27]
	s_and_b32 vcc_lo, exec_lo, s20
	s_mov_b32 s16, -1
	s_delay_alu instid0(VALU_DEP_2) | instskip(NEXT) | instid1(VALU_DEP_2)
	v_fma_f64 v[0:1], v[8:9], v[28:29], v[0:1]
	v_fma_f64 v[2:3], v[10:11], v[28:29], v[2:3]
	s_cbranch_vccz .LBB65_31
; %bb.30:                               ;   in Loop: Header=BB65_11 Depth=1
	v_lshlrev_b64 v[4:5], 4, v[24:25]
	s_mov_b32 s16, 0
	s_delay_alu instid0(VALU_DEP_1) | instskip(NEXT) | instid1(VALU_DEP_2)
	v_add_co_u32 v4, vcc_lo, v39, v4
	v_add_co_ci_u32_e32 v5, vcc_lo, v40, v5, vcc_lo
	global_store_b128 v[4:5], v[0:3], off
.LBB65_31:                              ;   in Loop: Header=BB65_11 Depth=1
	s_and_not1_b32 vcc_lo, exec_lo, s16
	s_cbranch_vccnz .LBB65_10
; %bb.32:                               ;   in Loop: Header=BB65_11 Depth=1
	v_mul_lo_u32 v6, v25, s14
	v_mul_lo_u32 v7, v24, s15
	v_mad_u64_u32 v[4:5], null, v24, s14, 0
	s_delay_alu instid0(VALU_DEP_1) | instskip(NEXT) | instid1(VALU_DEP_1)
	v_add3_u32 v5, v5, v7, v6
	v_lshlrev_b64 v[4:5], 4, v[4:5]
	s_delay_alu instid0(VALU_DEP_1) | instskip(NEXT) | instid1(VALU_DEP_2)
	v_add_co_u32 v4, vcc_lo, v41, v4
	v_add_co_ci_u32_e32 v5, vcc_lo, v42, v5, vcc_lo
	global_store_b128 v[4:5], v[0:3], off
	s_branch .LBB65_10
.LBB65_33:
	s_endpgm
	.section	.rodata,"a",@progbits
	.p2align	6, 0x0
	.amdhsa_kernel _ZN9rocsparseL29bsrmmnt_small_blockdim_kernelILj64ELj8ELj2Ell21rocsparse_complex_numIdES2_S2_S2_EEv20rocsparse_direction_T3_S4_llNS_24const_host_device_scalarIT7_EEPKT2_PKS4_PKT4_PKT5_llS7_PT6_ll16rocsparse_order_21rocsparse_index_base_b
		.amdhsa_group_segment_fixed_size 4096
		.amdhsa_private_segment_fixed_size 16
		.amdhsa_kernarg_size 416
		.amdhsa_user_sgpr_count 15
		.amdhsa_user_sgpr_dispatch_ptr 1
		.amdhsa_user_sgpr_queue_ptr 0
		.amdhsa_user_sgpr_kernarg_segment_ptr 1
		.amdhsa_user_sgpr_dispatch_id 0
		.amdhsa_user_sgpr_private_segment_size 0
		.amdhsa_wavefront_size32 1
		.amdhsa_uses_dynamic_stack 0
		.amdhsa_enable_private_segment 1
		.amdhsa_system_sgpr_workgroup_id_x 1
		.amdhsa_system_sgpr_workgroup_id_y 0
		.amdhsa_system_sgpr_workgroup_id_z 0
		.amdhsa_system_sgpr_workgroup_info 0
		.amdhsa_system_vgpr_workitem_id 2
		.amdhsa_next_free_vgpr 65
		.amdhsa_next_free_sgpr 27
		.amdhsa_reserve_vcc 1
		.amdhsa_float_round_mode_32 0
		.amdhsa_float_round_mode_16_64 0
		.amdhsa_float_denorm_mode_32 3
		.amdhsa_float_denorm_mode_16_64 3
		.amdhsa_dx10_clamp 1
		.amdhsa_ieee_mode 1
		.amdhsa_fp16_overflow 0
		.amdhsa_workgroup_processor_mode 1
		.amdhsa_memory_ordered 1
		.amdhsa_forward_progress 0
		.amdhsa_shared_vgpr_count 0
		.amdhsa_exception_fp_ieee_invalid_op 0
		.amdhsa_exception_fp_denorm_src 0
		.amdhsa_exception_fp_ieee_div_zero 0
		.amdhsa_exception_fp_ieee_overflow 0
		.amdhsa_exception_fp_ieee_underflow 0
		.amdhsa_exception_fp_ieee_inexact 0
		.amdhsa_exception_int_div_zero 0
	.end_amdhsa_kernel
	.section	.text._ZN9rocsparseL29bsrmmnt_small_blockdim_kernelILj64ELj8ELj2Ell21rocsparse_complex_numIdES2_S2_S2_EEv20rocsparse_direction_T3_S4_llNS_24const_host_device_scalarIT7_EEPKT2_PKS4_PKT4_PKT5_llS7_PT6_ll16rocsparse_order_21rocsparse_index_base_b,"axG",@progbits,_ZN9rocsparseL29bsrmmnt_small_blockdim_kernelILj64ELj8ELj2Ell21rocsparse_complex_numIdES2_S2_S2_EEv20rocsparse_direction_T3_S4_llNS_24const_host_device_scalarIT7_EEPKT2_PKS4_PKT4_PKT5_llS7_PT6_ll16rocsparse_order_21rocsparse_index_base_b,comdat
.Lfunc_end65:
	.size	_ZN9rocsparseL29bsrmmnt_small_blockdim_kernelILj64ELj8ELj2Ell21rocsparse_complex_numIdES2_S2_S2_EEv20rocsparse_direction_T3_S4_llNS_24const_host_device_scalarIT7_EEPKT2_PKS4_PKT4_PKT5_llS7_PT6_ll16rocsparse_order_21rocsparse_index_base_b, .Lfunc_end65-_ZN9rocsparseL29bsrmmnt_small_blockdim_kernelILj64ELj8ELj2Ell21rocsparse_complex_numIdES2_S2_S2_EEv20rocsparse_direction_T3_S4_llNS_24const_host_device_scalarIT7_EEPKT2_PKS4_PKT4_PKT5_llS7_PT6_ll16rocsparse_order_21rocsparse_index_base_b
                                        ; -- End function
	.section	.AMDGPU.csdata,"",@progbits
; Kernel info:
; codeLenInByte = 2264
; NumSgprs: 29
; NumVgprs: 65
; ScratchSize: 16
; MemoryBound: 1
; FloatMode: 240
; IeeeMode: 1
; LDSByteSize: 4096 bytes/workgroup (compile time only)
; SGPRBlocks: 3
; VGPRBlocks: 8
; NumSGPRsForWavesPerEU: 29
; NumVGPRsForWavesPerEU: 65
; Occupancy: 16
; WaveLimiterHint : 1
; COMPUTE_PGM_RSRC2:SCRATCH_EN: 1
; COMPUTE_PGM_RSRC2:USER_SGPR: 15
; COMPUTE_PGM_RSRC2:TRAP_HANDLER: 0
; COMPUTE_PGM_RSRC2:TGID_X_EN: 1
; COMPUTE_PGM_RSRC2:TGID_Y_EN: 0
; COMPUTE_PGM_RSRC2:TGID_Z_EN: 0
; COMPUTE_PGM_RSRC2:TIDIG_COMP_CNT: 2
	.section	.text._ZN9rocsparseL29bsrmmnt_small_blockdim_kernelILj64ELj16ELj2Ell21rocsparse_complex_numIdES2_S2_S2_EEv20rocsparse_direction_T3_S4_llNS_24const_host_device_scalarIT7_EEPKT2_PKS4_PKT4_PKT5_llS7_PT6_ll16rocsparse_order_21rocsparse_index_base_b,"axG",@progbits,_ZN9rocsparseL29bsrmmnt_small_blockdim_kernelILj64ELj16ELj2Ell21rocsparse_complex_numIdES2_S2_S2_EEv20rocsparse_direction_T3_S4_llNS_24const_host_device_scalarIT7_EEPKT2_PKS4_PKT4_PKT5_llS7_PT6_ll16rocsparse_order_21rocsparse_index_base_b,comdat
	.globl	_ZN9rocsparseL29bsrmmnt_small_blockdim_kernelILj64ELj16ELj2Ell21rocsparse_complex_numIdES2_S2_S2_EEv20rocsparse_direction_T3_S4_llNS_24const_host_device_scalarIT7_EEPKT2_PKS4_PKT4_PKT5_llS7_PT6_ll16rocsparse_order_21rocsparse_index_base_b ; -- Begin function _ZN9rocsparseL29bsrmmnt_small_blockdim_kernelILj64ELj16ELj2Ell21rocsparse_complex_numIdES2_S2_S2_EEv20rocsparse_direction_T3_S4_llNS_24const_host_device_scalarIT7_EEPKT2_PKS4_PKT4_PKT5_llS7_PT6_ll16rocsparse_order_21rocsparse_index_base_b
	.p2align	8
	.type	_ZN9rocsparseL29bsrmmnt_small_blockdim_kernelILj64ELj16ELj2Ell21rocsparse_complex_numIdES2_S2_S2_EEv20rocsparse_direction_T3_S4_llNS_24const_host_device_scalarIT7_EEPKT2_PKS4_PKT4_PKT5_llS7_PT6_ll16rocsparse_order_21rocsparse_index_base_b,@function
_ZN9rocsparseL29bsrmmnt_small_blockdim_kernelILj64ELj16ELj2Ell21rocsparse_complex_numIdES2_S2_S2_EEv20rocsparse_direction_T3_S4_llNS_24const_host_device_scalarIT7_EEPKT2_PKS4_PKT4_PKT5_llS7_PT6_ll16rocsparse_order_21rocsparse_index_base_b: ; @_ZN9rocsparseL29bsrmmnt_small_blockdim_kernelILj64ELj16ELj2Ell21rocsparse_complex_numIdES2_S2_S2_EEv20rocsparse_direction_T3_S4_llNS_24const_host_device_scalarIT7_EEPKT2_PKS4_PKT4_PKT5_llS7_PT6_ll16rocsparse_order_21rocsparse_index_base_b
; %bb.0:
	s_load_b128 s[20:23], s[2:3], 0x90
	s_load_b64 s[12:13], s[0:1], 0x4
	s_load_b128 s[8:11], s[2:3], 0x28
	v_bfe_u32 v2, v0, 10, 10
	s_mov_b64 s[0:1], src_shared_base
	s_load_b128 s[4:7], s[2:3], 0x68
	v_and_b32_e32 v1, 0x3ff, v0
	v_bfe_u32 v0, v0, 20, 10
	s_waitcnt lgkmcnt(0)
	s_bitcmp1_b32 s22, 0
	v_mul_u32_u24_e32 v2, s13, v2
	s_cselect_b32 s0, -1, 0
	v_mov_b32_e32 v10, s10
	s_and_b32 vcc_lo, s0, exec_lo
	s_cselect_b32 s1, s1, s9
	s_lshr_b32 s12, s12, 16
	v_dual_mov_b32 v4, s4 :: v_dual_mov_b32 v5, s5
	s_mul_i32 s12, s12, s13
	v_mov_b32_e32 v7, s1
	v_mad_u32_u24 v2, s12, v1, v2
	v_mov_b32_e32 v11, s11
	scratch_store_b64 off, v[4:5], off
	s_xor_b32 s1, s0, -1
	v_add_lshl_u32 v0, v2, v0, 3
	v_dual_mov_b32 v2, s8 :: v_dual_mov_b32 v3, s9
	s_delay_alu instid0(VALU_DEP_2)
	v_add_nc_u32_e32 v6, 0xe00, v0
	ds_store_b64 v0, v[2:3] offset:3584
	v_cndmask_b32_e64 v6, s8, v6, s0
	flat_load_b64 v[8:9], v[6:7]
	s_cbranch_vccnz .LBB66_2
; %bb.1:
	v_dual_mov_b32 v2, s8 :: v_dual_mov_b32 v3, s9
	flat_load_b64 v[10:11], v[2:3] offset:8
.LBB66_2:
	s_mov_b64 s[8:9], src_private_base
	s_and_b32 s8, s0, exec_lo
	s_cselect_b32 s8, s9, s5
	s_delay_alu instid0(SALU_CYCLE_1) | instskip(SKIP_2) | instid1(VALU_DEP_2)
	v_dual_mov_b32 v0, 0 :: v_dual_mov_b32 v3, s8
	v_dual_mov_b32 v15, s7 :: v_dual_mov_b32 v14, s6
	s_and_not1_b32 vcc_lo, exec_lo, s1
	v_cndmask_b32_e64 v2, s4, v0, s0
	flat_load_b64 v[12:13], v[2:3]
	s_cbranch_vccnz .LBB66_4
; %bb.3:
	v_dual_mov_b32 v2, s4 :: v_dual_mov_b32 v3, s5
	flat_load_b64 v[14:15], v[2:3] offset:8
.LBB66_4:
	s_waitcnt vmcnt(1) lgkmcnt(1)
	v_cmp_eq_f64_e32 vcc_lo, 0, v[8:9]
	v_cmp_eq_f64_e64 s0, 0, v[10:11]
	s_delay_alu instid0(VALU_DEP_1)
	s_and_b32 s4, vcc_lo, s0
	s_mov_b32 s0, -1
	s_and_saveexec_b32 s1, s4
	s_cbranch_execz .LBB66_6
; %bb.5:
	s_waitcnt vmcnt(0) lgkmcnt(0)
	v_cmp_neq_f64_e32 vcc_lo, 1.0, v[12:13]
	v_cmp_neq_f64_e64 s0, 0, v[14:15]
	s_delay_alu instid0(VALU_DEP_1) | instskip(NEXT) | instid1(SALU_CYCLE_1)
	s_or_b32 s0, vcc_lo, s0
	s_or_not1_b32 s0, s0, exec_lo
.LBB66_6:
	s_or_b32 exec_lo, exec_lo, s1
	s_and_saveexec_b32 s1, s0
	s_cbranch_execz .LBB66_33
; %bb.7:
	s_clause 0x1
	s_load_b32 s0, s[2:3], 0xac
	s_load_b128 s[16:19], s[2:3], 0x8
	v_mov_b32_e32 v4, 0
	s_waitcnt lgkmcnt(0)
	s_and_b32 s0, s0, 0xffff
	s_delay_alu instid0(SALU_CYCLE_1) | instskip(NEXT) | instid1(VALU_DEP_1)
	v_mad_u64_u32 v[2:3], null, s15, s0, v[1:2]
	v_lshrrev_b32_e32 v3, 5, v2
	s_delay_alu instid0(VALU_DEP_1)
	v_cmp_gt_i64_e32 vcc_lo, s[16:17], v[3:4]
	s_and_b32 exec_lo, exec_lo, vcc_lo
	s_cbranch_execz .LBB66_33
; %bb.8:
	v_cmp_lt_i64_e64 s0, s[18:19], 1
	s_delay_alu instid0(VALU_DEP_1)
	s_and_b32 vcc_lo, exec_lo, s0
	s_cbranch_vccnz .LBB66_33
; %bb.9:
	s_load_b256 s[4:11], s[2:3], 0x38
	v_lshlrev_b32_e32 v0, 3, v3
	s_load_b128 s[12:15], s[2:3], 0x78
	s_waitcnt vmcnt(0)
	v_cmp_neq_f64_e32 vcc_lo, 0, v[12:13]
	v_cmp_neq_f64_e64 s0, 0, v[14:15]
	v_lshrrev_b32_e32 v20, 4, v2
	s_load_b32 s1, s[2:3], 0x0
	v_and_b32_e32 v34, 15, v1
	v_lshrrev_b32_e32 v22, 4, v1
	s_mov_b32 s22, s21
	s_delay_alu instid0(VALU_DEP_1)
	v_lshl_or_b32 v35, v22, 7, 0xc00
	v_mul_u32_u24_e32 v36, 0x300, v22
	s_waitcnt lgkmcnt(0)
	global_load_b128 v[3:6], v0, s[4:5]
	s_load_b64 s[4:5], s[2:3], 0x58
	v_mad_u64_u32 v[17:18], null, v20, s14, 0
	v_bfe_u32 v0, v2, 4, 1
	v_and_b32_e32 v2, -16, v2
	s_mov_b64 s[2:3], 0
	s_delay_alu instid0(VALU_DEP_3) | instskip(NEXT) | instid1(VALU_DEP_1)
	v_mov_b32_e32 v7, v18
	v_mad_u64_u32 v[18:19], null, v20, s15, v[7:8]
	v_mul_u32_u24_e32 v7, 3, v34
	s_delay_alu instid0(VALU_DEP_1) | instskip(NEXT) | instid1(VALU_DEP_3)
	v_dual_mov_b32 v16, 0 :: v_dual_lshlrev_b32 v7, 4, v7
	v_lshlrev_b64 v[20:21], 4, v[17:18]
	s_or_b32 s23, vcc_lo, s0
	s_cmp_lg_u32 s20, 1
	s_delay_alu instid0(VALU_DEP_2)
	v_mov_b32_e32 v1, v16
	s_cselect_b32 s20, -1, 0
	s_cmp_eq_u32 s1, 0
	v_add_co_u32 v39, vcc_lo, s12, v20
	s_cselect_b32 s1, -1, 0
	v_add_co_ci_u32_e32 v40, vcc_lo, s13, v21, vcc_lo
	v_cndmask_b32_e64 v19, 0, 1, s1
	v_mad_u32_u24 v38, 0x300, v22, v7
	v_add_co_u32 v41, s12, s12, v2
	v_lshl_or_b32 v37, v34, 3, v35
	s_delay_alu instid0(VALU_DEP_4)
	v_lshlrev_b64 v[18:19], v19, v[0:1]
	v_add_co_ci_u32_e64 v42, null, s13, 0, s12
	s_and_b32 s1, s1, exec_lo
	s_waitcnt vmcnt(0)
	v_sub_co_u32 v20, vcc_lo, v3, s21
	v_subrev_co_ci_u32_e32 v21, vcc_lo, 0, v4, vcc_lo
	v_sub_co_u32 v22, vcc_lo, v5, s21
	v_cmp_lt_i64_e64 s0, v[3:4], v[5:6]
	v_subrev_co_ci_u32_e32 v23, vcc_lo, 0, v6, vcc_lo
	s_cselect_b32 s21, 1, 2
	s_waitcnt lgkmcnt(0)
	s_lshl_b64 s[12:13], s[4:5], 4
	s_branch .LBB66_11
.LBB66_10:                              ;   in Loop: Header=BB66_11 Depth=1
	s_or_b32 exec_lo, exec_lo, s1
	s_add_u32 s2, s2, 16
	s_addc_u32 s3, s3, 0
	s_delay_alu instid0(SALU_CYCLE_1) | instskip(NEXT) | instid1(VALU_DEP_1)
	v_cmp_lt_i64_e64 s1, s[2:3], s[18:19]
	s_and_b32 vcc_lo, exec_lo, s1
	s_cbranch_vccz .LBB66_33
.LBB66_11:                              ; =>This Loop Header: Depth=1
                                        ;     Child Loop BB66_14 Depth 2
                                        ;       Child Loop BB66_20 Depth 3
	v_mov_b32_e32 v26, 0
	v_mov_b32_e32 v27, 0
	v_or_b32_e64 v25, s3, 0
	v_or_b32_e32 v24, s2, v34
	s_delay_alu instid0(VALU_DEP_3)
	v_dual_mov_b32 v29, v27 :: v_dual_mov_b32 v28, v26
	s_and_saveexec_b32 s24, s0
	s_cbranch_execz .LBB66_22
; %bb.12:                               ;   in Loop: Header=BB66_11 Depth=1
	s_delay_alu instid0(VALU_DEP_2) | instskip(SKIP_3) | instid1(VALU_DEP_4)
	v_lshlrev_b64 v[0:1], 4, v[24:25]
	v_dual_mov_b32 v26, 0 :: v_dual_mov_b32 v31, v21
	v_dual_mov_b32 v27, 0 :: v_dual_mov_b32 v30, v20
	v_cmp_gt_i64_e32 vcc_lo, s[18:19], v[24:25]
	v_add_co_u32 v43, s1, s10, v0
	s_delay_alu instid0(VALU_DEP_1) | instskip(NEXT) | instid1(VALU_DEP_4)
	v_add_co_ci_u32_e64 v44, s1, s11, v1, s1
	v_dual_mov_b32 v29, v27 :: v_dual_mov_b32 v28, v26
	s_mov_b32 s25, 0
	s_branch .LBB66_14
.LBB66_13:                              ;   in Loop: Header=BB66_14 Depth=2
	s_or_b32 exec_lo, exec_lo, s16
	v_add_co_u32 v30, s1, v30, 16
	s_delay_alu instid0(VALU_DEP_1) | instskip(NEXT) | instid1(VALU_DEP_1)
	v_add_co_ci_u32_e64 v31, s1, 0, v31, s1
	v_cmp_ge_i64_e64 s1, v[30:31], v[22:23]
	s_delay_alu instid0(VALU_DEP_1) | instskip(NEXT) | instid1(SALU_CYCLE_1)
	s_or_b32 s25, s1, s25
	s_and_not1_b32 exec_lo, exec_lo, s25
	s_cbranch_execz .LBB66_21
.LBB66_14:                              ;   Parent Loop BB66_11 Depth=1
                                        ; =>  This Loop Header: Depth=2
                                        ;       Child Loop BB66_20 Depth 3
	v_add_co_u32 v32, s1, v30, v34
	s_delay_alu instid0(VALU_DEP_1) | instskip(NEXT) | instid1(VALU_DEP_1)
	v_add_co_ci_u32_e64 v33, s1, 0, v31, s1
                                        ; implicit-def: $sgpr16_sgpr17
	v_cmp_ge_i64_e64 s1, v[32:33], v[22:23]
	s_delay_alu instid0(VALU_DEP_1) | instskip(NEXT) | instid1(SALU_CYCLE_1)
	s_and_saveexec_b32 s26, s1
	s_xor_b32 s1, exec_lo, s26
	s_cbranch_execz .LBB66_16
; %bb.15:                               ;   in Loop: Header=BB66_14 Depth=2
	v_mov_b32_e32 v17, v16
	s_mov_b64 s[16:17], 0
                                        ; implicit-def: $vgpr32_vgpr33
	ds_store_b64 v37, v[16:17]
.LBB66_16:                              ;   in Loop: Header=BB66_14 Depth=2
	s_or_saveexec_b32 s26, s1
	v_dual_mov_b32 v4, s16 :: v_dual_mov_b32 v5, s17
	v_dual_mov_b32 v6, s16 :: v_dual_mov_b32 v7, s17
	;; [unrolled: 1-line block ×4, first 2 shown]
	s_xor_b32 exec_lo, exec_lo, s26
	s_cbranch_execz .LBB66_18
; %bb.17:                               ;   in Loop: Header=BB66_14 Depth=2
	v_lshlrev_b64 v[0:1], 2, v[32:33]
	v_lshlrev_b64 v[2:3], 3, v[32:33]
	s_delay_alu instid0(VALU_DEP_2) | instskip(NEXT) | instid1(VALU_DEP_3)
	v_or_b32_e32 v1, v1, v19
	v_or_b32_e32 v0, v0, v18
	s_delay_alu instid0(VALU_DEP_3) | instskip(NEXT) | instid1(VALU_DEP_1)
	v_add_co_u32 v2, s1, s6, v2
	v_add_co_ci_u32_e64 v3, s1, s7, v3, s1
	s_delay_alu instid0(VALU_DEP_4) | instskip(NEXT) | instid1(VALU_DEP_4)
	v_or_b32_e32 v5, 0, v1
	v_or_b32_e32 v4, s21, v0
	v_lshlrev_b64 v[0:1], 4, v[0:1]
	global_load_b64 v[32:33], v[2:3], off
	v_lshlrev_b64 v[2:3], 4, v[4:5]
	v_add_co_u32 v0, s1, s8, v0
	s_delay_alu instid0(VALU_DEP_1) | instskip(NEXT) | instid1(VALU_DEP_3)
	v_add_co_ci_u32_e64 v1, s1, s9, v1, s1
	v_add_co_u32 v2, s1, s8, v2
	s_delay_alu instid0(VALU_DEP_1)
	v_add_co_ci_u32_e64 v3, s1, s9, v3, s1
	s_clause 0x1
	global_load_b128 v[4:7], v[0:1], off
	global_load_b128 v[0:3], v[2:3], off
	s_waitcnt vmcnt(2)
	v_sub_co_u32 v32, s1, v32, s22
	s_delay_alu instid0(VALU_DEP_1) | instskip(NEXT) | instid1(VALU_DEP_1)
	v_subrev_co_ci_u32_e64 v33, s1, 0, v33, s1
	v_lshlrev_b64 v[32:33], 1, v[32:33]
	ds_store_b64 v37, v[32:33]
.LBB66_18:                              ;   in Loop: Header=BB66_14 Depth=2
	s_or_b32 exec_lo, exec_lo, s26
	s_waitcnt vmcnt(1)
	ds_store_b128 v38, v[4:7]
	s_waitcnt vmcnt(0)
	ds_store_b128 v38, v[0:3] offset:16
	s_waitcnt lgkmcnt(0)
	s_waitcnt_vscnt null, 0x0
	s_barrier
	buffer_gl0_inv
	s_and_saveexec_b32 s16, vcc_lo
	s_cbranch_execz .LBB66_13
; %bb.19:                               ;   in Loop: Header=BB66_14 Depth=2
	v_mov_b32_e32 v0, v36
	s_mov_b32 s17, 0
.LBB66_20:                              ;   Parent Loop BB66_11 Depth=1
                                        ;     Parent Loop BB66_14 Depth=2
                                        ; =>    This Inner Loop Header: Depth=3
	s_delay_alu instid0(SALU_CYCLE_1) | instskip(SKIP_1) | instid1(SALU_CYCLE_1)
	v_add_nc_u32_e32 v1, s17, v35
	s_add_i32 s17, s17, 16
	s_cmpk_lg_i32 s17, 0x80
	ds_load_b128 v[1:4], v1
	s_waitcnt lgkmcnt(0)
	v_mul_lo_u32 v2, v2, s4
	v_mul_lo_u32 v7, v1, s5
	v_mad_u64_u32 v[5:6], null, v1, s4, 0
	v_mul_lo_u32 v4, v4, s4
	s_delay_alu instid0(VALU_DEP_2) | instskip(NEXT) | instid1(VALU_DEP_1)
	v_add3_u32 v6, v6, v7, v2
	v_lshlrev_b64 v[1:2], 4, v[5:6]
	v_mul_lo_u32 v5, v3, s5
	s_delay_alu instid0(VALU_DEP_2) | instskip(NEXT) | instid1(VALU_DEP_1)
	v_add_co_u32 v1, s1, v43, v1
	v_add_co_ci_u32_e64 v2, s1, v44, v2, s1
	global_load_b128 v[45:48], v[1:2], off
	v_add_co_u32 v1, s1, v1, s12
	s_delay_alu instid0(VALU_DEP_1) | instskip(SKIP_2) | instid1(VALU_DEP_1)
	v_add_co_ci_u32_e64 v2, s1, s13, v2, s1
	global_load_b128 v[49:52], v[1:2], off
	v_mad_u64_u32 v[1:2], null, v3, s4, 0
	v_add3_u32 v2, v2, v5, v4
	s_delay_alu instid0(VALU_DEP_1) | instskip(NEXT) | instid1(VALU_DEP_1)
	v_lshlrev_b64 v[1:2], 4, v[1:2]
	v_add_co_u32 v5, s1, v43, v1
	s_delay_alu instid0(VALU_DEP_1) | instskip(SKIP_2) | instid1(VALU_DEP_1)
	v_add_co_ci_u32_e64 v6, s1, v44, v2, s1
	global_load_b128 v[1:4], v[5:6], off
	v_add_co_u32 v5, s1, v5, s12
	v_add_co_ci_u32_e64 v6, s1, s13, v6, s1
	global_load_b128 v[53:56], v[5:6], off
	ds_load_b128 v[57:60], v0
	ds_load_b128 v[61:64], v0 offset:16
	s_waitcnt vmcnt(3) lgkmcnt(1)
	v_fma_f64 v[5:6], v[57:58], v[45:46], v[28:29]
	v_fma_f64 v[26:27], v[59:60], v[45:46], v[26:27]
	s_delay_alu instid0(VALU_DEP_2) | instskip(NEXT) | instid1(VALU_DEP_2)
	v_fma_f64 v[5:6], -v[59:60], v[47:48], v[5:6]
	v_fma_f64 v[26:27], v[57:58], v[47:48], v[26:27]
	s_waitcnt vmcnt(2) lgkmcnt(0)
	s_delay_alu instid0(VALU_DEP_2) | instskip(NEXT) | instid1(VALU_DEP_2)
	v_fma_f64 v[5:6], v[61:62], v[49:50], v[5:6]
	v_fma_f64 v[26:27], v[63:64], v[49:50], v[26:27]
	s_delay_alu instid0(VALU_DEP_2) | instskip(NEXT) | instid1(VALU_DEP_2)
	v_fma_f64 v[5:6], -v[63:64], v[51:52], v[5:6]
	v_fma_f64 v[32:33], v[61:62], v[51:52], v[26:27]
	ds_load_b128 v[26:29], v0 offset:48
	ds_load_b128 v[45:48], v0 offset:64
	v_add_nc_u32_e32 v0, 0x60, v0
	s_waitcnt vmcnt(1) lgkmcnt(1)
	v_fma_f64 v[5:6], v[26:27], v[1:2], v[5:6]
	v_fma_f64 v[1:2], v[28:29], v[1:2], v[32:33]
	s_delay_alu instid0(VALU_DEP_2) | instskip(NEXT) | instid1(VALU_DEP_2)
	v_fma_f64 v[5:6], -v[28:29], v[3:4], v[5:6]
	v_fma_f64 v[1:2], v[26:27], v[3:4], v[1:2]
	s_waitcnt vmcnt(0) lgkmcnt(0)
	s_delay_alu instid0(VALU_DEP_2) | instskip(NEXT) | instid1(VALU_DEP_2)
	v_fma_f64 v[3:4], v[45:46], v[53:54], v[5:6]
	v_fma_f64 v[1:2], v[47:48], v[53:54], v[1:2]
	s_delay_alu instid0(VALU_DEP_2) | instskip(NEXT) | instid1(VALU_DEP_2)
	v_fma_f64 v[28:29], -v[47:48], v[55:56], v[3:4]
	v_fma_f64 v[26:27], v[45:46], v[55:56], v[1:2]
	s_cbranch_scc1 .LBB66_20
	s_branch .LBB66_13
.LBB66_21:                              ;   in Loop: Header=BB66_11 Depth=1
	s_or_b32 exec_lo, exec_lo, s25
.LBB66_22:                              ;   in Loop: Header=BB66_11 Depth=1
	s_delay_alu instid0(SALU_CYCLE_1) | instskip(NEXT) | instid1(SALU_CYCLE_1)
	s_or_b32 exec_lo, exec_lo, s24
	s_mov_b32 s1, exec_lo
	v_cmpx_gt_i64_e64 s[18:19], v[24:25]
	s_cbranch_execz .LBB66_10
; %bb.23:                               ;   in Loop: Header=BB66_11 Depth=1
	s_and_saveexec_b32 s16, s23
	s_delay_alu instid0(SALU_CYCLE_1)
	s_xor_b32 s16, exec_lo, s16
	s_cbranch_execz .LBB66_28
; %bb.24:                               ;   in Loop: Header=BB66_11 Depth=1
	s_and_b32 vcc_lo, exec_lo, s20
	s_mov_b32 s17, -1
	s_cbranch_vccz .LBB66_26
; %bb.25:                               ;   in Loop: Header=BB66_11 Depth=1
	v_lshlrev_b64 v[0:1], 4, v[24:25]
	v_mul_f64 v[6:7], v[26:27], -v[10:11]
	v_mul_f64 v[30:31], v[8:9], v[26:27]
	s_mov_b32 s17, 0
	s_delay_alu instid0(VALU_DEP_3) | instskip(NEXT) | instid1(VALU_DEP_4)
	v_add_co_u32 v4, vcc_lo, v39, v0
	v_add_co_ci_u32_e32 v5, vcc_lo, v40, v1, vcc_lo
	global_load_b128 v[0:3], v[4:5], off
	v_fma_f64 v[6:7], v[8:9], v[28:29], v[6:7]
	v_fma_f64 v[30:31], v[10:11], v[28:29], v[30:31]
	s_waitcnt vmcnt(0)
	s_delay_alu instid0(VALU_DEP_2) | instskip(NEXT) | instid1(VALU_DEP_2)
	v_fma_f64 v[6:7], v[12:13], v[0:1], v[6:7]
	v_fma_f64 v[30:31], v[14:15], v[0:1], v[30:31]
	s_delay_alu instid0(VALU_DEP_2) | instskip(NEXT) | instid1(VALU_DEP_2)
	v_fma_f64 v[0:1], -v[14:15], v[2:3], v[6:7]
	v_fma_f64 v[2:3], v[12:13], v[2:3], v[30:31]
	global_store_b128 v[4:5], v[0:3], off
.LBB66_26:                              ;   in Loop: Header=BB66_11 Depth=1
	s_and_not1_b32 vcc_lo, exec_lo, s17
	s_cbranch_vccnz .LBB66_28
; %bb.27:                               ;   in Loop: Header=BB66_11 Depth=1
	v_mul_lo_u32 v2, v25, s14
	v_mul_lo_u32 v3, v24, s15
	v_mad_u64_u32 v[0:1], null, v24, s14, 0
	v_mul_f64 v[6:7], v[26:27], -v[10:11]
	v_mul_f64 v[24:25], v[8:9], v[26:27]
                                        ; implicit-def: $vgpr26_vgpr27
	s_delay_alu instid0(VALU_DEP_3) | instskip(NEXT) | instid1(VALU_DEP_1)
	v_add3_u32 v1, v1, v3, v2
	v_lshlrev_b64 v[0:1], 4, v[0:1]
	s_delay_alu instid0(VALU_DEP_1) | instskip(NEXT) | instid1(VALU_DEP_2)
	v_add_co_u32 v4, vcc_lo, v41, v0
	v_add_co_ci_u32_e32 v5, vcc_lo, v42, v1, vcc_lo
	global_load_b128 v[0:3], v[4:5], off
	v_fma_f64 v[6:7], v[8:9], v[28:29], v[6:7]
	v_fma_f64 v[24:25], v[10:11], v[28:29], v[24:25]
                                        ; implicit-def: $vgpr28_vgpr29
	s_waitcnt vmcnt(0)
	s_delay_alu instid0(VALU_DEP_2) | instskip(NEXT) | instid1(VALU_DEP_2)
	v_fma_f64 v[6:7], v[12:13], v[0:1], v[6:7]
	v_fma_f64 v[24:25], v[14:15], v[0:1], v[24:25]
	s_delay_alu instid0(VALU_DEP_2) | instskip(NEXT) | instid1(VALU_DEP_2)
	v_fma_f64 v[0:1], -v[14:15], v[2:3], v[6:7]
	v_fma_f64 v[2:3], v[12:13], v[2:3], v[24:25]
                                        ; implicit-def: $vgpr24_vgpr25
	global_store_b128 v[4:5], v[0:3], off
.LBB66_28:                              ;   in Loop: Header=BB66_11 Depth=1
	s_and_not1_saveexec_b32 s16, s16
	s_cbranch_execz .LBB66_10
; %bb.29:                               ;   in Loop: Header=BB66_11 Depth=1
	v_mul_f64 v[0:1], v[26:27], -v[10:11]
	v_mul_f64 v[2:3], v[8:9], v[26:27]
	s_and_b32 vcc_lo, exec_lo, s20
	s_mov_b32 s16, -1
	s_delay_alu instid0(VALU_DEP_2) | instskip(NEXT) | instid1(VALU_DEP_2)
	v_fma_f64 v[0:1], v[8:9], v[28:29], v[0:1]
	v_fma_f64 v[2:3], v[10:11], v[28:29], v[2:3]
	s_cbranch_vccz .LBB66_31
; %bb.30:                               ;   in Loop: Header=BB66_11 Depth=1
	v_lshlrev_b64 v[4:5], 4, v[24:25]
	s_mov_b32 s16, 0
	s_delay_alu instid0(VALU_DEP_1) | instskip(NEXT) | instid1(VALU_DEP_2)
	v_add_co_u32 v4, vcc_lo, v39, v4
	v_add_co_ci_u32_e32 v5, vcc_lo, v40, v5, vcc_lo
	global_store_b128 v[4:5], v[0:3], off
.LBB66_31:                              ;   in Loop: Header=BB66_11 Depth=1
	s_and_not1_b32 vcc_lo, exec_lo, s16
	s_cbranch_vccnz .LBB66_10
; %bb.32:                               ;   in Loop: Header=BB66_11 Depth=1
	v_mul_lo_u32 v6, v25, s14
	v_mul_lo_u32 v7, v24, s15
	v_mad_u64_u32 v[4:5], null, v24, s14, 0
	s_delay_alu instid0(VALU_DEP_1) | instskip(NEXT) | instid1(VALU_DEP_1)
	v_add3_u32 v5, v5, v7, v6
	v_lshlrev_b64 v[4:5], 4, v[4:5]
	s_delay_alu instid0(VALU_DEP_1) | instskip(NEXT) | instid1(VALU_DEP_2)
	v_add_co_u32 v4, vcc_lo, v41, v4
	v_add_co_ci_u32_e32 v5, vcc_lo, v42, v5, vcc_lo
	global_store_b128 v[4:5], v[0:3], off
	s_branch .LBB66_10
.LBB66_33:
	s_endpgm
	.section	.rodata,"a",@progbits
	.p2align	6, 0x0
	.amdhsa_kernel _ZN9rocsparseL29bsrmmnt_small_blockdim_kernelILj64ELj16ELj2Ell21rocsparse_complex_numIdES2_S2_S2_EEv20rocsparse_direction_T3_S4_llNS_24const_host_device_scalarIT7_EEPKT2_PKS4_PKT4_PKT5_llS7_PT6_ll16rocsparse_order_21rocsparse_index_base_b
		.amdhsa_group_segment_fixed_size 4096
		.amdhsa_private_segment_fixed_size 16
		.amdhsa_kernarg_size 416
		.amdhsa_user_sgpr_count 15
		.amdhsa_user_sgpr_dispatch_ptr 1
		.amdhsa_user_sgpr_queue_ptr 0
		.amdhsa_user_sgpr_kernarg_segment_ptr 1
		.amdhsa_user_sgpr_dispatch_id 0
		.amdhsa_user_sgpr_private_segment_size 0
		.amdhsa_wavefront_size32 1
		.amdhsa_uses_dynamic_stack 0
		.amdhsa_enable_private_segment 1
		.amdhsa_system_sgpr_workgroup_id_x 1
		.amdhsa_system_sgpr_workgroup_id_y 0
		.amdhsa_system_sgpr_workgroup_id_z 0
		.amdhsa_system_sgpr_workgroup_info 0
		.amdhsa_system_vgpr_workitem_id 2
		.amdhsa_next_free_vgpr 65
		.amdhsa_next_free_sgpr 27
		.amdhsa_reserve_vcc 1
		.amdhsa_float_round_mode_32 0
		.amdhsa_float_round_mode_16_64 0
		.amdhsa_float_denorm_mode_32 3
		.amdhsa_float_denorm_mode_16_64 3
		.amdhsa_dx10_clamp 1
		.amdhsa_ieee_mode 1
		.amdhsa_fp16_overflow 0
		.amdhsa_workgroup_processor_mode 1
		.amdhsa_memory_ordered 1
		.amdhsa_forward_progress 0
		.amdhsa_shared_vgpr_count 0
		.amdhsa_exception_fp_ieee_invalid_op 0
		.amdhsa_exception_fp_denorm_src 0
		.amdhsa_exception_fp_ieee_div_zero 0
		.amdhsa_exception_fp_ieee_overflow 0
		.amdhsa_exception_fp_ieee_underflow 0
		.amdhsa_exception_fp_ieee_inexact 0
		.amdhsa_exception_int_div_zero 0
	.end_amdhsa_kernel
	.section	.text._ZN9rocsparseL29bsrmmnt_small_blockdim_kernelILj64ELj16ELj2Ell21rocsparse_complex_numIdES2_S2_S2_EEv20rocsparse_direction_T3_S4_llNS_24const_host_device_scalarIT7_EEPKT2_PKS4_PKT4_PKT5_llS7_PT6_ll16rocsparse_order_21rocsparse_index_base_b,"axG",@progbits,_ZN9rocsparseL29bsrmmnt_small_blockdim_kernelILj64ELj16ELj2Ell21rocsparse_complex_numIdES2_S2_S2_EEv20rocsparse_direction_T3_S4_llNS_24const_host_device_scalarIT7_EEPKT2_PKS4_PKT4_PKT5_llS7_PT6_ll16rocsparse_order_21rocsparse_index_base_b,comdat
.Lfunc_end66:
	.size	_ZN9rocsparseL29bsrmmnt_small_blockdim_kernelILj64ELj16ELj2Ell21rocsparse_complex_numIdES2_S2_S2_EEv20rocsparse_direction_T3_S4_llNS_24const_host_device_scalarIT7_EEPKT2_PKS4_PKT4_PKT5_llS7_PT6_ll16rocsparse_order_21rocsparse_index_base_b, .Lfunc_end66-_ZN9rocsparseL29bsrmmnt_small_blockdim_kernelILj64ELj16ELj2Ell21rocsparse_complex_numIdES2_S2_S2_EEv20rocsparse_direction_T3_S4_llNS_24const_host_device_scalarIT7_EEPKT2_PKS4_PKT4_PKT5_llS7_PT6_ll16rocsparse_order_21rocsparse_index_base_b
                                        ; -- End function
	.section	.AMDGPU.csdata,"",@progbits
; Kernel info:
; codeLenInByte = 2252
; NumSgprs: 29
; NumVgprs: 65
; ScratchSize: 16
; MemoryBound: 1
; FloatMode: 240
; IeeeMode: 1
; LDSByteSize: 4096 bytes/workgroup (compile time only)
; SGPRBlocks: 3
; VGPRBlocks: 8
; NumSGPRsForWavesPerEU: 29
; NumVGPRsForWavesPerEU: 65
; Occupancy: 16
; WaveLimiterHint : 1
; COMPUTE_PGM_RSRC2:SCRATCH_EN: 1
; COMPUTE_PGM_RSRC2:USER_SGPR: 15
; COMPUTE_PGM_RSRC2:TRAP_HANDLER: 0
; COMPUTE_PGM_RSRC2:TGID_X_EN: 1
; COMPUTE_PGM_RSRC2:TGID_Y_EN: 0
; COMPUTE_PGM_RSRC2:TGID_Z_EN: 0
; COMPUTE_PGM_RSRC2:TIDIG_COMP_CNT: 2
	.section	.text._ZN9rocsparseL29bsrmmnt_small_blockdim_kernelILj64ELj32ELj2Ell21rocsparse_complex_numIdES2_S2_S2_EEv20rocsparse_direction_T3_S4_llNS_24const_host_device_scalarIT7_EEPKT2_PKS4_PKT4_PKT5_llS7_PT6_ll16rocsparse_order_21rocsparse_index_base_b,"axG",@progbits,_ZN9rocsparseL29bsrmmnt_small_blockdim_kernelILj64ELj32ELj2Ell21rocsparse_complex_numIdES2_S2_S2_EEv20rocsparse_direction_T3_S4_llNS_24const_host_device_scalarIT7_EEPKT2_PKS4_PKT4_PKT5_llS7_PT6_ll16rocsparse_order_21rocsparse_index_base_b,comdat
	.globl	_ZN9rocsparseL29bsrmmnt_small_blockdim_kernelILj64ELj32ELj2Ell21rocsparse_complex_numIdES2_S2_S2_EEv20rocsparse_direction_T3_S4_llNS_24const_host_device_scalarIT7_EEPKT2_PKS4_PKT4_PKT5_llS7_PT6_ll16rocsparse_order_21rocsparse_index_base_b ; -- Begin function _ZN9rocsparseL29bsrmmnt_small_blockdim_kernelILj64ELj32ELj2Ell21rocsparse_complex_numIdES2_S2_S2_EEv20rocsparse_direction_T3_S4_llNS_24const_host_device_scalarIT7_EEPKT2_PKS4_PKT4_PKT5_llS7_PT6_ll16rocsparse_order_21rocsparse_index_base_b
	.p2align	8
	.type	_ZN9rocsparseL29bsrmmnt_small_blockdim_kernelILj64ELj32ELj2Ell21rocsparse_complex_numIdES2_S2_S2_EEv20rocsparse_direction_T3_S4_llNS_24const_host_device_scalarIT7_EEPKT2_PKS4_PKT4_PKT5_llS7_PT6_ll16rocsparse_order_21rocsparse_index_base_b,@function
_ZN9rocsparseL29bsrmmnt_small_blockdim_kernelILj64ELj32ELj2Ell21rocsparse_complex_numIdES2_S2_S2_EEv20rocsparse_direction_T3_S4_llNS_24const_host_device_scalarIT7_EEPKT2_PKS4_PKT4_PKT5_llS7_PT6_ll16rocsparse_order_21rocsparse_index_base_b: ; @_ZN9rocsparseL29bsrmmnt_small_blockdim_kernelILj64ELj32ELj2Ell21rocsparse_complex_numIdES2_S2_S2_EEv20rocsparse_direction_T3_S4_llNS_24const_host_device_scalarIT7_EEPKT2_PKS4_PKT4_PKT5_llS7_PT6_ll16rocsparse_order_21rocsparse_index_base_b
; %bb.0:
	s_load_b128 s[20:23], s[2:3], 0x90
	s_load_b64 s[12:13], s[0:1], 0x4
	s_load_b128 s[8:11], s[2:3], 0x28
	v_bfe_u32 v2, v0, 10, 10
	s_mov_b64 s[0:1], src_shared_base
	s_load_b128 s[4:7], s[2:3], 0x68
	v_and_b32_e32 v1, 0x3ff, v0
	v_bfe_u32 v0, v0, 20, 10
	s_waitcnt lgkmcnt(0)
	s_bitcmp1_b32 s22, 0
	v_mul_u32_u24_e32 v2, s13, v2
	s_cselect_b32 s0, -1, 0
	v_mov_b32_e32 v10, s10
	s_and_b32 vcc_lo, s0, exec_lo
	s_cselect_b32 s1, s1, s9
	s_lshr_b32 s12, s12, 16
	v_dual_mov_b32 v4, s4 :: v_dual_mov_b32 v5, s5
	s_mul_i32 s12, s12, s13
	v_mov_b32_e32 v7, s1
	v_mad_u32_u24 v2, s12, v1, v2
	v_mov_b32_e32 v11, s11
	scratch_store_b64 off, v[4:5], off
	s_xor_b32 s1, s0, -1
	v_add_lshl_u32 v0, v2, v0, 3
	v_dual_mov_b32 v2, s8 :: v_dual_mov_b32 v3, s9
	s_delay_alu instid0(VALU_DEP_2)
	v_add_nc_u32_e32 v6, 0xe00, v0
	ds_store_b64 v0, v[2:3] offset:3584
	v_cndmask_b32_e64 v6, s8, v6, s0
	flat_load_b64 v[8:9], v[6:7]
	s_cbranch_vccnz .LBB67_2
; %bb.1:
	v_dual_mov_b32 v2, s8 :: v_dual_mov_b32 v3, s9
	flat_load_b64 v[10:11], v[2:3] offset:8
.LBB67_2:
	s_mov_b64 s[8:9], src_private_base
	s_and_b32 s8, s0, exec_lo
	s_cselect_b32 s8, s9, s5
	s_delay_alu instid0(SALU_CYCLE_1) | instskip(SKIP_2) | instid1(VALU_DEP_2)
	v_dual_mov_b32 v0, 0 :: v_dual_mov_b32 v3, s8
	v_dual_mov_b32 v15, s7 :: v_dual_mov_b32 v14, s6
	s_and_not1_b32 vcc_lo, exec_lo, s1
	v_cndmask_b32_e64 v2, s4, v0, s0
	flat_load_b64 v[12:13], v[2:3]
	s_cbranch_vccnz .LBB67_4
; %bb.3:
	v_dual_mov_b32 v2, s4 :: v_dual_mov_b32 v3, s5
	flat_load_b64 v[14:15], v[2:3] offset:8
.LBB67_4:
	s_waitcnt vmcnt(1) lgkmcnt(1)
	v_cmp_eq_f64_e32 vcc_lo, 0, v[8:9]
	v_cmp_eq_f64_e64 s0, 0, v[10:11]
	s_delay_alu instid0(VALU_DEP_1)
	s_and_b32 s4, vcc_lo, s0
	s_mov_b32 s0, -1
	s_and_saveexec_b32 s1, s4
	s_cbranch_execz .LBB67_6
; %bb.5:
	s_waitcnt vmcnt(0) lgkmcnt(0)
	v_cmp_neq_f64_e32 vcc_lo, 1.0, v[12:13]
	v_cmp_neq_f64_e64 s0, 0, v[14:15]
	s_delay_alu instid0(VALU_DEP_1) | instskip(NEXT) | instid1(SALU_CYCLE_1)
	s_or_b32 s0, vcc_lo, s0
	s_or_not1_b32 s0, s0, exec_lo
.LBB67_6:
	s_or_b32 exec_lo, exec_lo, s1
	s_and_saveexec_b32 s1, s0
	s_cbranch_execz .LBB67_33
; %bb.7:
	s_clause 0x1
	s_load_b32 s0, s[2:3], 0xac
	s_load_b128 s[16:19], s[2:3], 0x8
	v_mov_b32_e32 v4, 0
	s_waitcnt lgkmcnt(0)
	s_and_b32 s0, s0, 0xffff
	s_delay_alu instid0(SALU_CYCLE_1) | instskip(NEXT) | instid1(VALU_DEP_1)
	v_mad_u64_u32 v[2:3], null, s15, s0, v[1:2]
	v_lshrrev_b32_e32 v3, 6, v2
	s_delay_alu instid0(VALU_DEP_1)
	v_cmp_gt_i64_e32 vcc_lo, s[16:17], v[3:4]
	s_and_b32 exec_lo, exec_lo, vcc_lo
	s_cbranch_execz .LBB67_33
; %bb.8:
	v_cmp_lt_i64_e64 s0, s[18:19], 1
	s_delay_alu instid0(VALU_DEP_1)
	s_and_b32 vcc_lo, exec_lo, s0
	s_cbranch_vccnz .LBB67_33
; %bb.9:
	s_load_b256 s[4:11], s[2:3], 0x38
	v_lshrrev_b32_e32 v7, 5, v2
	v_mov_b32_e32 v16, 0
	v_lshlrev_b32_e32 v0, 3, v3
	v_and_b32_e32 v34, 31, v1
	v_lshrrev_b32_e32 v22, 5, v1
	s_load_b128 s[12:15], s[2:3], 0x78
	v_mov_b32_e32 v1, v16
	s_waitcnt vmcnt(0)
	v_cmp_neq_f64_e32 vcc_lo, 0, v[12:13]
	v_cmp_neq_f64_e64 s0, 0, v[14:15]
	s_load_b32 s1, s[2:3], 0x0
	v_lshl_or_b32 v35, v22, 8, 0xc00
	v_mul_u32_u24_e32 v36, 0x600, v22
	s_mov_b32 s22, s21
	s_delay_alu instid0(VALU_DEP_2)
	v_lshl_or_b32 v37, v34, 3, v35
	s_waitcnt lgkmcnt(0)
	global_load_b128 v[3:6], v0, s[4:5]
	s_load_b64 s[4:5], s[2:3], 0x58
	v_bfe_u32 v0, v2, 5, 1
	s_mov_b64 s[2:3], 0
	v_mad_u64_u32 v[17:18], null, v7, s14, 0
	s_delay_alu instid0(VALU_DEP_1)
	v_mov_b32_e32 v2, v18
	s_or_b32 s23, vcc_lo, s0
	s_cmp_lg_u32 s20, 1
	s_cselect_b32 s20, -1, 0
	s_cmp_eq_u32 s1, 0
	s_cselect_b32 s1, -1, 0
	s_waitcnt vmcnt(0)
	v_mad_u64_u32 v[18:19], null, v7, s15, v[2:3]
	v_mul_u32_u24_e32 v2, 3, v34
	v_lshlrev_b32_e32 v7, 4, v7
	v_cndmask_b32_e64 v19, 0, 1, s1
	v_cmp_lt_i64_e64 s0, v[3:4], v[5:6]
	s_and_b32 s1, s1, exec_lo
	v_lshlrev_b32_e32 v2, 4, v2
	v_lshlrev_b64 v[20:21], 4, v[17:18]
	v_lshlrev_b64 v[18:19], v19, v[0:1]
	s_delay_alu instid0(VALU_DEP_3) | instskip(NEXT) | instid1(VALU_DEP_3)
	v_mad_u32_u24 v38, 0x600, v22, v2
	v_add_co_u32 v39, vcc_lo, s12, v20
	s_delay_alu instid0(VALU_DEP_4)
	v_add_co_ci_u32_e32 v40, vcc_lo, s13, v21, vcc_lo
	v_sub_co_u32 v20, vcc_lo, v3, s21
	v_subrev_co_ci_u32_e32 v21, vcc_lo, 0, v4, vcc_lo
	v_sub_co_u32 v22, vcc_lo, v5, s21
	v_add_co_u32 v41, s12, s12, v7
	v_subrev_co_ci_u32_e32 v23, vcc_lo, 0, v6, vcc_lo
	v_add_co_ci_u32_e64 v42, null, s13, 0, s12
	s_cselect_b32 s21, 1, 2
	s_waitcnt lgkmcnt(0)
	s_lshl_b64 s[12:13], s[4:5], 4
	s_branch .LBB67_11
.LBB67_10:                              ;   in Loop: Header=BB67_11 Depth=1
	s_or_b32 exec_lo, exec_lo, s1
	s_add_u32 s2, s2, 32
	s_addc_u32 s3, s3, 0
	s_delay_alu instid0(SALU_CYCLE_1) | instskip(NEXT) | instid1(VALU_DEP_1)
	v_cmp_lt_i64_e64 s1, s[2:3], s[18:19]
	s_and_b32 vcc_lo, exec_lo, s1
	s_cbranch_vccz .LBB67_33
.LBB67_11:                              ; =>This Loop Header: Depth=1
                                        ;     Child Loop BB67_14 Depth 2
                                        ;       Child Loop BB67_20 Depth 3
	v_mov_b32_e32 v26, 0
	v_mov_b32_e32 v27, 0
	v_or_b32_e64 v25, s3, 0
	v_or_b32_e32 v24, s2, v34
	s_delay_alu instid0(VALU_DEP_3)
	v_dual_mov_b32 v29, v27 :: v_dual_mov_b32 v28, v26
	s_and_saveexec_b32 s24, s0
	s_cbranch_execz .LBB67_22
; %bb.12:                               ;   in Loop: Header=BB67_11 Depth=1
	s_delay_alu instid0(VALU_DEP_2) | instskip(SKIP_3) | instid1(VALU_DEP_4)
	v_lshlrev_b64 v[0:1], 4, v[24:25]
	v_dual_mov_b32 v26, 0 :: v_dual_mov_b32 v31, v21
	v_dual_mov_b32 v27, 0 :: v_dual_mov_b32 v30, v20
	v_cmp_gt_i64_e32 vcc_lo, s[18:19], v[24:25]
	v_add_co_u32 v43, s1, s10, v0
	s_delay_alu instid0(VALU_DEP_1) | instskip(NEXT) | instid1(VALU_DEP_4)
	v_add_co_ci_u32_e64 v44, s1, s11, v1, s1
	v_dual_mov_b32 v29, v27 :: v_dual_mov_b32 v28, v26
	s_mov_b32 s25, 0
	s_branch .LBB67_14
.LBB67_13:                              ;   in Loop: Header=BB67_14 Depth=2
	s_or_b32 exec_lo, exec_lo, s16
	v_add_co_u32 v30, s1, v30, 32
	s_delay_alu instid0(VALU_DEP_1) | instskip(NEXT) | instid1(VALU_DEP_1)
	v_add_co_ci_u32_e64 v31, s1, 0, v31, s1
	v_cmp_ge_i64_e64 s1, v[30:31], v[22:23]
	s_delay_alu instid0(VALU_DEP_1) | instskip(NEXT) | instid1(SALU_CYCLE_1)
	s_or_b32 s25, s1, s25
	s_and_not1_b32 exec_lo, exec_lo, s25
	s_cbranch_execz .LBB67_21
.LBB67_14:                              ;   Parent Loop BB67_11 Depth=1
                                        ; =>  This Loop Header: Depth=2
                                        ;       Child Loop BB67_20 Depth 3
	v_add_co_u32 v32, s1, v30, v34
	s_delay_alu instid0(VALU_DEP_1) | instskip(NEXT) | instid1(VALU_DEP_1)
	v_add_co_ci_u32_e64 v33, s1, 0, v31, s1
                                        ; implicit-def: $sgpr16_sgpr17
	v_cmp_ge_i64_e64 s1, v[32:33], v[22:23]
	s_delay_alu instid0(VALU_DEP_1) | instskip(NEXT) | instid1(SALU_CYCLE_1)
	s_and_saveexec_b32 s26, s1
	s_xor_b32 s1, exec_lo, s26
	s_cbranch_execz .LBB67_16
; %bb.15:                               ;   in Loop: Header=BB67_14 Depth=2
	v_mov_b32_e32 v17, v16
	s_mov_b64 s[16:17], 0
                                        ; implicit-def: $vgpr32_vgpr33
	ds_store_b64 v37, v[16:17]
.LBB67_16:                              ;   in Loop: Header=BB67_14 Depth=2
	s_or_saveexec_b32 s26, s1
	v_dual_mov_b32 v4, s16 :: v_dual_mov_b32 v5, s17
	v_dual_mov_b32 v6, s16 :: v_dual_mov_b32 v7, s17
	v_dual_mov_b32 v0, s16 :: v_dual_mov_b32 v1, s17
	v_dual_mov_b32 v2, s16 :: v_dual_mov_b32 v3, s17
	s_xor_b32 exec_lo, exec_lo, s26
	s_cbranch_execz .LBB67_18
; %bb.17:                               ;   in Loop: Header=BB67_14 Depth=2
	v_lshlrev_b64 v[0:1], 2, v[32:33]
	v_lshlrev_b64 v[2:3], 3, v[32:33]
	s_delay_alu instid0(VALU_DEP_2) | instskip(NEXT) | instid1(VALU_DEP_3)
	v_or_b32_e32 v1, v1, v19
	v_or_b32_e32 v0, v0, v18
	s_delay_alu instid0(VALU_DEP_3) | instskip(NEXT) | instid1(VALU_DEP_1)
	v_add_co_u32 v2, s1, s6, v2
	v_add_co_ci_u32_e64 v3, s1, s7, v3, s1
	s_delay_alu instid0(VALU_DEP_4) | instskip(NEXT) | instid1(VALU_DEP_4)
	v_or_b32_e32 v5, 0, v1
	v_or_b32_e32 v4, s21, v0
	v_lshlrev_b64 v[0:1], 4, v[0:1]
	global_load_b64 v[32:33], v[2:3], off
	v_lshlrev_b64 v[2:3], 4, v[4:5]
	v_add_co_u32 v0, s1, s8, v0
	s_delay_alu instid0(VALU_DEP_1) | instskip(NEXT) | instid1(VALU_DEP_3)
	v_add_co_ci_u32_e64 v1, s1, s9, v1, s1
	v_add_co_u32 v2, s1, s8, v2
	s_delay_alu instid0(VALU_DEP_1)
	v_add_co_ci_u32_e64 v3, s1, s9, v3, s1
	s_clause 0x1
	global_load_b128 v[4:7], v[0:1], off
	global_load_b128 v[0:3], v[2:3], off
	s_waitcnt vmcnt(2)
	v_sub_co_u32 v32, s1, v32, s22
	s_delay_alu instid0(VALU_DEP_1) | instskip(NEXT) | instid1(VALU_DEP_1)
	v_subrev_co_ci_u32_e64 v33, s1, 0, v33, s1
	v_lshlrev_b64 v[32:33], 1, v[32:33]
	ds_store_b64 v37, v[32:33]
.LBB67_18:                              ;   in Loop: Header=BB67_14 Depth=2
	s_or_b32 exec_lo, exec_lo, s26
	s_waitcnt vmcnt(1)
	ds_store_b128 v38, v[4:7]
	s_waitcnt vmcnt(0)
	ds_store_b128 v38, v[0:3] offset:16
	s_waitcnt lgkmcnt(0)
	s_waitcnt_vscnt null, 0x0
	s_barrier
	buffer_gl0_inv
	s_and_saveexec_b32 s16, vcc_lo
	s_cbranch_execz .LBB67_13
; %bb.19:                               ;   in Loop: Header=BB67_14 Depth=2
	v_mov_b32_e32 v0, v36
	s_mov_b32 s17, 0
.LBB67_20:                              ;   Parent Loop BB67_11 Depth=1
                                        ;     Parent Loop BB67_14 Depth=2
                                        ; =>    This Inner Loop Header: Depth=3
	s_delay_alu instid0(SALU_CYCLE_1) | instskip(SKIP_1) | instid1(SALU_CYCLE_1)
	v_add_nc_u32_e32 v1, s17, v35
	s_add_i32 s17, s17, 16
	s_cmpk_lg_i32 s17, 0x100
	ds_load_b128 v[1:4], v1
	s_waitcnt lgkmcnt(0)
	v_mul_lo_u32 v2, v2, s4
	v_mul_lo_u32 v7, v1, s5
	v_mad_u64_u32 v[5:6], null, v1, s4, 0
	v_mul_lo_u32 v4, v4, s4
	s_delay_alu instid0(VALU_DEP_2) | instskip(NEXT) | instid1(VALU_DEP_1)
	v_add3_u32 v6, v6, v7, v2
	v_lshlrev_b64 v[1:2], 4, v[5:6]
	v_mul_lo_u32 v5, v3, s5
	s_delay_alu instid0(VALU_DEP_2) | instskip(NEXT) | instid1(VALU_DEP_1)
	v_add_co_u32 v1, s1, v43, v1
	v_add_co_ci_u32_e64 v2, s1, v44, v2, s1
	global_load_b128 v[45:48], v[1:2], off
	v_add_co_u32 v1, s1, v1, s12
	s_delay_alu instid0(VALU_DEP_1) | instskip(SKIP_2) | instid1(VALU_DEP_1)
	v_add_co_ci_u32_e64 v2, s1, s13, v2, s1
	global_load_b128 v[49:52], v[1:2], off
	v_mad_u64_u32 v[1:2], null, v3, s4, 0
	v_add3_u32 v2, v2, v5, v4
	s_delay_alu instid0(VALU_DEP_1) | instskip(NEXT) | instid1(VALU_DEP_1)
	v_lshlrev_b64 v[1:2], 4, v[1:2]
	v_add_co_u32 v5, s1, v43, v1
	s_delay_alu instid0(VALU_DEP_1) | instskip(SKIP_2) | instid1(VALU_DEP_1)
	v_add_co_ci_u32_e64 v6, s1, v44, v2, s1
	global_load_b128 v[1:4], v[5:6], off
	v_add_co_u32 v5, s1, v5, s12
	v_add_co_ci_u32_e64 v6, s1, s13, v6, s1
	global_load_b128 v[53:56], v[5:6], off
	ds_load_b128 v[57:60], v0
	ds_load_b128 v[61:64], v0 offset:16
	s_waitcnt vmcnt(3) lgkmcnt(1)
	v_fma_f64 v[5:6], v[57:58], v[45:46], v[28:29]
	v_fma_f64 v[26:27], v[59:60], v[45:46], v[26:27]
	s_delay_alu instid0(VALU_DEP_2) | instskip(NEXT) | instid1(VALU_DEP_2)
	v_fma_f64 v[5:6], -v[59:60], v[47:48], v[5:6]
	v_fma_f64 v[26:27], v[57:58], v[47:48], v[26:27]
	s_waitcnt vmcnt(2) lgkmcnt(0)
	s_delay_alu instid0(VALU_DEP_2) | instskip(NEXT) | instid1(VALU_DEP_2)
	v_fma_f64 v[5:6], v[61:62], v[49:50], v[5:6]
	v_fma_f64 v[26:27], v[63:64], v[49:50], v[26:27]
	s_delay_alu instid0(VALU_DEP_2) | instskip(NEXT) | instid1(VALU_DEP_2)
	v_fma_f64 v[5:6], -v[63:64], v[51:52], v[5:6]
	v_fma_f64 v[32:33], v[61:62], v[51:52], v[26:27]
	ds_load_b128 v[26:29], v0 offset:48
	ds_load_b128 v[45:48], v0 offset:64
	v_add_nc_u32_e32 v0, 0x60, v0
	s_waitcnt vmcnt(1) lgkmcnt(1)
	v_fma_f64 v[5:6], v[26:27], v[1:2], v[5:6]
	v_fma_f64 v[1:2], v[28:29], v[1:2], v[32:33]
	s_delay_alu instid0(VALU_DEP_2) | instskip(NEXT) | instid1(VALU_DEP_2)
	v_fma_f64 v[5:6], -v[28:29], v[3:4], v[5:6]
	v_fma_f64 v[1:2], v[26:27], v[3:4], v[1:2]
	s_waitcnt vmcnt(0) lgkmcnt(0)
	s_delay_alu instid0(VALU_DEP_2) | instskip(NEXT) | instid1(VALU_DEP_2)
	v_fma_f64 v[3:4], v[45:46], v[53:54], v[5:6]
	v_fma_f64 v[1:2], v[47:48], v[53:54], v[1:2]
	s_delay_alu instid0(VALU_DEP_2) | instskip(NEXT) | instid1(VALU_DEP_2)
	v_fma_f64 v[28:29], -v[47:48], v[55:56], v[3:4]
	v_fma_f64 v[26:27], v[45:46], v[55:56], v[1:2]
	s_cbranch_scc1 .LBB67_20
	s_branch .LBB67_13
.LBB67_21:                              ;   in Loop: Header=BB67_11 Depth=1
	s_or_b32 exec_lo, exec_lo, s25
.LBB67_22:                              ;   in Loop: Header=BB67_11 Depth=1
	s_delay_alu instid0(SALU_CYCLE_1) | instskip(NEXT) | instid1(SALU_CYCLE_1)
	s_or_b32 exec_lo, exec_lo, s24
	s_mov_b32 s1, exec_lo
	v_cmpx_gt_i64_e64 s[18:19], v[24:25]
	s_cbranch_execz .LBB67_10
; %bb.23:                               ;   in Loop: Header=BB67_11 Depth=1
	s_and_saveexec_b32 s16, s23
	s_delay_alu instid0(SALU_CYCLE_1)
	s_xor_b32 s16, exec_lo, s16
	s_cbranch_execz .LBB67_28
; %bb.24:                               ;   in Loop: Header=BB67_11 Depth=1
	s_and_b32 vcc_lo, exec_lo, s20
	s_mov_b32 s17, -1
	s_cbranch_vccz .LBB67_26
; %bb.25:                               ;   in Loop: Header=BB67_11 Depth=1
	v_lshlrev_b64 v[0:1], 4, v[24:25]
	v_mul_f64 v[6:7], v[26:27], -v[10:11]
	v_mul_f64 v[30:31], v[8:9], v[26:27]
	s_mov_b32 s17, 0
	s_delay_alu instid0(VALU_DEP_3) | instskip(NEXT) | instid1(VALU_DEP_4)
	v_add_co_u32 v4, vcc_lo, v39, v0
	v_add_co_ci_u32_e32 v5, vcc_lo, v40, v1, vcc_lo
	global_load_b128 v[0:3], v[4:5], off
	v_fma_f64 v[6:7], v[8:9], v[28:29], v[6:7]
	v_fma_f64 v[30:31], v[10:11], v[28:29], v[30:31]
	s_waitcnt vmcnt(0)
	s_delay_alu instid0(VALU_DEP_2) | instskip(NEXT) | instid1(VALU_DEP_2)
	v_fma_f64 v[6:7], v[12:13], v[0:1], v[6:7]
	v_fma_f64 v[30:31], v[14:15], v[0:1], v[30:31]
	s_delay_alu instid0(VALU_DEP_2) | instskip(NEXT) | instid1(VALU_DEP_2)
	v_fma_f64 v[0:1], -v[14:15], v[2:3], v[6:7]
	v_fma_f64 v[2:3], v[12:13], v[2:3], v[30:31]
	global_store_b128 v[4:5], v[0:3], off
.LBB67_26:                              ;   in Loop: Header=BB67_11 Depth=1
	s_and_not1_b32 vcc_lo, exec_lo, s17
	s_cbranch_vccnz .LBB67_28
; %bb.27:                               ;   in Loop: Header=BB67_11 Depth=1
	v_mul_lo_u32 v2, v25, s14
	v_mul_lo_u32 v3, v24, s15
	v_mad_u64_u32 v[0:1], null, v24, s14, 0
	v_mul_f64 v[6:7], v[26:27], -v[10:11]
	v_mul_f64 v[24:25], v[8:9], v[26:27]
                                        ; implicit-def: $vgpr26_vgpr27
	s_delay_alu instid0(VALU_DEP_3) | instskip(NEXT) | instid1(VALU_DEP_1)
	v_add3_u32 v1, v1, v3, v2
	v_lshlrev_b64 v[0:1], 4, v[0:1]
	s_delay_alu instid0(VALU_DEP_1) | instskip(NEXT) | instid1(VALU_DEP_2)
	v_add_co_u32 v4, vcc_lo, v41, v0
	v_add_co_ci_u32_e32 v5, vcc_lo, v42, v1, vcc_lo
	global_load_b128 v[0:3], v[4:5], off
	v_fma_f64 v[6:7], v[8:9], v[28:29], v[6:7]
	v_fma_f64 v[24:25], v[10:11], v[28:29], v[24:25]
                                        ; implicit-def: $vgpr28_vgpr29
	s_waitcnt vmcnt(0)
	s_delay_alu instid0(VALU_DEP_2) | instskip(NEXT) | instid1(VALU_DEP_2)
	v_fma_f64 v[6:7], v[12:13], v[0:1], v[6:7]
	v_fma_f64 v[24:25], v[14:15], v[0:1], v[24:25]
	s_delay_alu instid0(VALU_DEP_2) | instskip(NEXT) | instid1(VALU_DEP_2)
	v_fma_f64 v[0:1], -v[14:15], v[2:3], v[6:7]
	v_fma_f64 v[2:3], v[12:13], v[2:3], v[24:25]
                                        ; implicit-def: $vgpr24_vgpr25
	global_store_b128 v[4:5], v[0:3], off
.LBB67_28:                              ;   in Loop: Header=BB67_11 Depth=1
	s_and_not1_saveexec_b32 s16, s16
	s_cbranch_execz .LBB67_10
; %bb.29:                               ;   in Loop: Header=BB67_11 Depth=1
	v_mul_f64 v[0:1], v[26:27], -v[10:11]
	v_mul_f64 v[2:3], v[8:9], v[26:27]
	s_and_b32 vcc_lo, exec_lo, s20
	s_mov_b32 s16, -1
	s_delay_alu instid0(VALU_DEP_2) | instskip(NEXT) | instid1(VALU_DEP_2)
	v_fma_f64 v[0:1], v[8:9], v[28:29], v[0:1]
	v_fma_f64 v[2:3], v[10:11], v[28:29], v[2:3]
	s_cbranch_vccz .LBB67_31
; %bb.30:                               ;   in Loop: Header=BB67_11 Depth=1
	v_lshlrev_b64 v[4:5], 4, v[24:25]
	s_mov_b32 s16, 0
	s_delay_alu instid0(VALU_DEP_1) | instskip(NEXT) | instid1(VALU_DEP_2)
	v_add_co_u32 v4, vcc_lo, v39, v4
	v_add_co_ci_u32_e32 v5, vcc_lo, v40, v5, vcc_lo
	global_store_b128 v[4:5], v[0:3], off
.LBB67_31:                              ;   in Loop: Header=BB67_11 Depth=1
	s_and_not1_b32 vcc_lo, exec_lo, s16
	s_cbranch_vccnz .LBB67_10
; %bb.32:                               ;   in Loop: Header=BB67_11 Depth=1
	v_mul_lo_u32 v6, v25, s14
	v_mul_lo_u32 v7, v24, s15
	v_mad_u64_u32 v[4:5], null, v24, s14, 0
	s_delay_alu instid0(VALU_DEP_1) | instskip(NEXT) | instid1(VALU_DEP_1)
	v_add3_u32 v5, v5, v7, v6
	v_lshlrev_b64 v[4:5], 4, v[4:5]
	s_delay_alu instid0(VALU_DEP_1) | instskip(NEXT) | instid1(VALU_DEP_2)
	v_add_co_u32 v4, vcc_lo, v41, v4
	v_add_co_ci_u32_e32 v5, vcc_lo, v42, v5, vcc_lo
	global_store_b128 v[4:5], v[0:3], off
	s_branch .LBB67_10
.LBB67_33:
	s_endpgm
	.section	.rodata,"a",@progbits
	.p2align	6, 0x0
	.amdhsa_kernel _ZN9rocsparseL29bsrmmnt_small_blockdim_kernelILj64ELj32ELj2Ell21rocsparse_complex_numIdES2_S2_S2_EEv20rocsparse_direction_T3_S4_llNS_24const_host_device_scalarIT7_EEPKT2_PKS4_PKT4_PKT5_llS7_PT6_ll16rocsparse_order_21rocsparse_index_base_b
		.amdhsa_group_segment_fixed_size 4096
		.amdhsa_private_segment_fixed_size 16
		.amdhsa_kernarg_size 416
		.amdhsa_user_sgpr_count 15
		.amdhsa_user_sgpr_dispatch_ptr 1
		.amdhsa_user_sgpr_queue_ptr 0
		.amdhsa_user_sgpr_kernarg_segment_ptr 1
		.amdhsa_user_sgpr_dispatch_id 0
		.amdhsa_user_sgpr_private_segment_size 0
		.amdhsa_wavefront_size32 1
		.amdhsa_uses_dynamic_stack 0
		.amdhsa_enable_private_segment 1
		.amdhsa_system_sgpr_workgroup_id_x 1
		.amdhsa_system_sgpr_workgroup_id_y 0
		.amdhsa_system_sgpr_workgroup_id_z 0
		.amdhsa_system_sgpr_workgroup_info 0
		.amdhsa_system_vgpr_workitem_id 2
		.amdhsa_next_free_vgpr 65
		.amdhsa_next_free_sgpr 27
		.amdhsa_reserve_vcc 1
		.amdhsa_float_round_mode_32 0
		.amdhsa_float_round_mode_16_64 0
		.amdhsa_float_denorm_mode_32 3
		.amdhsa_float_denorm_mode_16_64 3
		.amdhsa_dx10_clamp 1
		.amdhsa_ieee_mode 1
		.amdhsa_fp16_overflow 0
		.amdhsa_workgroup_processor_mode 1
		.amdhsa_memory_ordered 1
		.amdhsa_forward_progress 0
		.amdhsa_shared_vgpr_count 0
		.amdhsa_exception_fp_ieee_invalid_op 0
		.amdhsa_exception_fp_denorm_src 0
		.amdhsa_exception_fp_ieee_div_zero 0
		.amdhsa_exception_fp_ieee_overflow 0
		.amdhsa_exception_fp_ieee_underflow 0
		.amdhsa_exception_fp_ieee_inexact 0
		.amdhsa_exception_int_div_zero 0
	.end_amdhsa_kernel
	.section	.text._ZN9rocsparseL29bsrmmnt_small_blockdim_kernelILj64ELj32ELj2Ell21rocsparse_complex_numIdES2_S2_S2_EEv20rocsparse_direction_T3_S4_llNS_24const_host_device_scalarIT7_EEPKT2_PKS4_PKT4_PKT5_llS7_PT6_ll16rocsparse_order_21rocsparse_index_base_b,"axG",@progbits,_ZN9rocsparseL29bsrmmnt_small_blockdim_kernelILj64ELj32ELj2Ell21rocsparse_complex_numIdES2_S2_S2_EEv20rocsparse_direction_T3_S4_llNS_24const_host_device_scalarIT7_EEPKT2_PKS4_PKT4_PKT5_llS7_PT6_ll16rocsparse_order_21rocsparse_index_base_b,comdat
.Lfunc_end67:
	.size	_ZN9rocsparseL29bsrmmnt_small_blockdim_kernelILj64ELj32ELj2Ell21rocsparse_complex_numIdES2_S2_S2_EEv20rocsparse_direction_T3_S4_llNS_24const_host_device_scalarIT7_EEPKT2_PKS4_PKT4_PKT5_llS7_PT6_ll16rocsparse_order_21rocsparse_index_base_b, .Lfunc_end67-_ZN9rocsparseL29bsrmmnt_small_blockdim_kernelILj64ELj32ELj2Ell21rocsparse_complex_numIdES2_S2_S2_EEv20rocsparse_direction_T3_S4_llNS_24const_host_device_scalarIT7_EEPKT2_PKS4_PKT4_PKT5_llS7_PT6_ll16rocsparse_order_21rocsparse_index_base_b
                                        ; -- End function
	.section	.AMDGPU.csdata,"",@progbits
; Kernel info:
; codeLenInByte = 2248
; NumSgprs: 29
; NumVgprs: 65
; ScratchSize: 16
; MemoryBound: 1
; FloatMode: 240
; IeeeMode: 1
; LDSByteSize: 4096 bytes/workgroup (compile time only)
; SGPRBlocks: 3
; VGPRBlocks: 8
; NumSGPRsForWavesPerEU: 29
; NumVGPRsForWavesPerEU: 65
; Occupancy: 16
; WaveLimiterHint : 1
; COMPUTE_PGM_RSRC2:SCRATCH_EN: 1
; COMPUTE_PGM_RSRC2:USER_SGPR: 15
; COMPUTE_PGM_RSRC2:TRAP_HANDLER: 0
; COMPUTE_PGM_RSRC2:TGID_X_EN: 1
; COMPUTE_PGM_RSRC2:TGID_Y_EN: 0
; COMPUTE_PGM_RSRC2:TGID_Z_EN: 0
; COMPUTE_PGM_RSRC2:TIDIG_COMP_CNT: 2
	.section	.text._ZN9rocsparseL29bsrmmnt_small_blockdim_kernelILj64ELj64ELj2Ell21rocsparse_complex_numIdES2_S2_S2_EEv20rocsparse_direction_T3_S4_llNS_24const_host_device_scalarIT7_EEPKT2_PKS4_PKT4_PKT5_llS7_PT6_ll16rocsparse_order_21rocsparse_index_base_b,"axG",@progbits,_ZN9rocsparseL29bsrmmnt_small_blockdim_kernelILj64ELj64ELj2Ell21rocsparse_complex_numIdES2_S2_S2_EEv20rocsparse_direction_T3_S4_llNS_24const_host_device_scalarIT7_EEPKT2_PKS4_PKT4_PKT5_llS7_PT6_ll16rocsparse_order_21rocsparse_index_base_b,comdat
	.globl	_ZN9rocsparseL29bsrmmnt_small_blockdim_kernelILj64ELj64ELj2Ell21rocsparse_complex_numIdES2_S2_S2_EEv20rocsparse_direction_T3_S4_llNS_24const_host_device_scalarIT7_EEPKT2_PKS4_PKT4_PKT5_llS7_PT6_ll16rocsparse_order_21rocsparse_index_base_b ; -- Begin function _ZN9rocsparseL29bsrmmnt_small_blockdim_kernelILj64ELj64ELj2Ell21rocsparse_complex_numIdES2_S2_S2_EEv20rocsparse_direction_T3_S4_llNS_24const_host_device_scalarIT7_EEPKT2_PKS4_PKT4_PKT5_llS7_PT6_ll16rocsparse_order_21rocsparse_index_base_b
	.p2align	8
	.type	_ZN9rocsparseL29bsrmmnt_small_blockdim_kernelILj64ELj64ELj2Ell21rocsparse_complex_numIdES2_S2_S2_EEv20rocsparse_direction_T3_S4_llNS_24const_host_device_scalarIT7_EEPKT2_PKS4_PKT4_PKT5_llS7_PT6_ll16rocsparse_order_21rocsparse_index_base_b,@function
_ZN9rocsparseL29bsrmmnt_small_blockdim_kernelILj64ELj64ELj2Ell21rocsparse_complex_numIdES2_S2_S2_EEv20rocsparse_direction_T3_S4_llNS_24const_host_device_scalarIT7_EEPKT2_PKS4_PKT4_PKT5_llS7_PT6_ll16rocsparse_order_21rocsparse_index_base_b: ; @_ZN9rocsparseL29bsrmmnt_small_blockdim_kernelILj64ELj64ELj2Ell21rocsparse_complex_numIdES2_S2_S2_EEv20rocsparse_direction_T3_S4_llNS_24const_host_device_scalarIT7_EEPKT2_PKS4_PKT4_PKT5_llS7_PT6_ll16rocsparse_order_21rocsparse_index_base_b
; %bb.0:
	s_load_b128 s[20:23], s[2:3], 0x90
	s_load_b64 s[12:13], s[0:1], 0x4
	s_load_b128 s[8:11], s[2:3], 0x28
	v_bfe_u32 v1, v0, 10, 10
	s_mov_b64 s[0:1], src_shared_base
	s_load_b128 s[4:7], s[2:3], 0x68
	v_and_b32_e32 v8, 0x3ff, v0
	v_bfe_u32 v0, v0, 20, 10
	s_waitcnt lgkmcnt(0)
	s_bitcmp1_b32 s22, 0
	v_mul_u32_u24_e32 v1, s13, v1
	s_cselect_b32 s0, -1, 0
	v_mov_b32_e32 v12, s11
	s_and_b32 vcc_lo, s0, exec_lo
	s_cselect_b32 s1, s1, s9
	s_lshr_b32 s12, s12, 16
	v_dual_mov_b32 v2, s4 :: v_dual_mov_b32 v11, s10
	s_mul_i32 s12, s12, s13
	v_mov_b32_e32 v5, s1
	v_mad_u32_u24 v1, s12, v8, v1
	s_xor_b32 s1, s0, -1
	v_mov_b32_e32 v3, s5
	s_delay_alu instid0(VALU_DEP_2)
	v_add_lshl_u32 v6, v1, v0, 3
	v_dual_mov_b32 v0, s8 :: v_dual_mov_b32 v1, s9
	scratch_store_b64 off, v[2:3], off
	v_add_nc_u32_e32 v4, 0xe00, v6
	ds_store_b64 v6, v[0:1] offset:3584
	v_cndmask_b32_e64 v4, s8, v4, s0
	flat_load_b64 v[9:10], v[4:5]
	s_cbranch_vccnz .LBB68_2
; %bb.1:
	v_dual_mov_b32 v0, s8 :: v_dual_mov_b32 v1, s9
	flat_load_b64 v[11:12], v[0:1] offset:8
.LBB68_2:
	s_mov_b64 s[8:9], src_private_base
	s_and_b32 s8, s0, exec_lo
	s_cselect_b32 s8, s9, s5
	s_delay_alu instid0(SALU_CYCLE_1) | instskip(SKIP_2) | instid1(VALU_DEP_2)
	v_dual_mov_b32 v0, 0 :: v_dual_mov_b32 v1, s8
	v_dual_mov_b32 v16, s7 :: v_dual_mov_b32 v15, s6
	s_and_not1_b32 vcc_lo, exec_lo, s1
	v_cndmask_b32_e64 v0, s4, v0, s0
	flat_load_b64 v[13:14], v[0:1]
	s_cbranch_vccnz .LBB68_4
; %bb.3:
	v_dual_mov_b32 v0, s4 :: v_dual_mov_b32 v1, s5
	flat_load_b64 v[15:16], v[0:1] offset:8
.LBB68_4:
	s_waitcnt vmcnt(1) lgkmcnt(1)
	v_cmp_eq_f64_e32 vcc_lo, 0, v[9:10]
	v_cmp_eq_f64_e64 s0, 0, v[11:12]
	s_delay_alu instid0(VALU_DEP_1)
	s_and_b32 s4, vcc_lo, s0
	s_mov_b32 s0, -1
	s_and_saveexec_b32 s1, s4
	s_cbranch_execz .LBB68_6
; %bb.5:
	s_waitcnt vmcnt(0) lgkmcnt(0)
	v_cmp_neq_f64_e32 vcc_lo, 1.0, v[13:14]
	v_cmp_neq_f64_e64 s0, 0, v[15:16]
	s_delay_alu instid0(VALU_DEP_1) | instskip(NEXT) | instid1(SALU_CYCLE_1)
	s_or_b32 s0, vcc_lo, s0
	s_or_not1_b32 s0, s0, exec_lo
.LBB68_6:
	s_or_b32 exec_lo, exec_lo, s1
	s_and_saveexec_b32 s1, s0
	s_cbranch_execz .LBB68_33
; %bb.7:
	s_clause 0x1
	s_load_b32 s0, s[2:3], 0xac
	s_load_b128 s[16:19], s[2:3], 0x8
	v_mov_b32_e32 v2, 0
	s_waitcnt lgkmcnt(0)
	s_and_b32 s0, s0, 0xffff
	s_delay_alu instid0(SALU_CYCLE_1) | instskip(NEXT) | instid1(VALU_DEP_1)
	v_mad_u64_u32 v[0:1], null, s15, s0, v[8:9]
	v_lshrrev_b32_e32 v1, 7, v0
	s_delay_alu instid0(VALU_DEP_1)
	v_cmp_gt_i64_e32 vcc_lo, s[16:17], v[1:2]
	s_and_b32 exec_lo, exec_lo, vcc_lo
	s_cbranch_execz .LBB68_33
; %bb.8:
	v_cmp_lt_i64_e64 s0, s[18:19], 1
	s_delay_alu instid0(VALU_DEP_1)
	s_and_b32 vcc_lo, exec_lo, s0
	s_cbranch_vccnz .LBB68_33
; %bb.9:
	s_load_b256 s[4:11], s[2:3], 0x38
	v_lshlrev_b32_e32 v1, 3, v1
	s_load_b128 s[12:15], s[2:3], 0x78
	s_waitcnt vmcnt(0)
	v_cmp_neq_f64_e32 vcc_lo, 0, v[13:14]
	v_cmp_neq_f64_e64 s0, 0, v[15:16]
	v_lshrrev_b32_e32 v7, 6, v0
	s_load_b32 s1, s[2:3], 0x0
	v_lshl_or_b32 v35, v8, 3, 0xc00
	s_mov_b32 s22, s21
	s_waitcnt lgkmcnt(0)
	global_load_b128 v[1:4], v1, s[4:5]
	s_load_b64 s[4:5], s[2:3], 0x58
	v_mad_u64_u32 v[5:6], null, v7, s14, 0
	s_mov_b64 s[2:3], 0
	s_delay_alu instid0(VALU_DEP_1) | instskip(SKIP_2) | instid1(VALU_DEP_1)
	v_mad_u64_u32 v[18:19], null, v7, s15, v[6:7]
	v_bfe_u32 v19, v0, 6, 1
	v_mul_u32_u24_e32 v0, 3, v8
	v_dual_mov_b32 v17, 0 :: v_dual_lshlrev_b32 v36, 4, v0
	s_delay_alu instid0(VALU_DEP_4) | instskip(SKIP_1) | instid1(VALU_DEP_3)
	v_mov_b32_e32 v6, v18
	v_lshlrev_b32_e32 v0, 4, v7
	v_mov_b32_e32 v20, v17
	s_or_b32 s23, vcc_lo, s0
	s_cmp_lg_u32 s20, 1
	v_lshlrev_b64 v[5:6], 4, v[5:6]
	s_cselect_b32 s20, -1, 0
	s_cmp_eq_u32 s1, 0
	s_cselect_b32 s1, -1, 0
	s_delay_alu instid0(VALU_DEP_1) | instskip(SKIP_3) | instid1(VALU_DEP_3)
	v_add_co_u32 v37, vcc_lo, s12, v5
	v_cndmask_b32_e64 v18, 0, 1, s1
	v_add_co_ci_u32_e32 v38, vcc_lo, s13, v6, vcc_lo
	v_add_co_u32 v39, s12, s12, v0
	v_lshlrev_b64 v[19:20], v18, v[19:20]
	v_add_co_ci_u32_e64 v40, null, s13, 0, s12
	s_and_b32 s1, s1, exec_lo
	s_waitcnt vmcnt(0)
	v_sub_co_u32 v21, vcc_lo, v1, s21
	v_subrev_co_ci_u32_e32 v22, vcc_lo, 0, v2, vcc_lo
	v_sub_co_u32 v23, vcc_lo, v3, s21
	v_cmp_lt_i64_e64 s0, v[1:2], v[3:4]
	v_subrev_co_ci_u32_e32 v24, vcc_lo, 0, v4, vcc_lo
	s_cselect_b32 s21, 1, 2
	s_waitcnt lgkmcnt(0)
	s_lshl_b64 s[12:13], s[4:5], 4
	s_branch .LBB68_11
.LBB68_10:                              ;   in Loop: Header=BB68_11 Depth=1
	s_or_b32 exec_lo, exec_lo, s1
	s_add_u32 s2, s2, 64
	s_addc_u32 s3, s3, 0
	s_delay_alu instid0(SALU_CYCLE_1) | instskip(NEXT) | instid1(VALU_DEP_1)
	v_cmp_lt_i64_e64 s1, s[2:3], s[18:19]
	s_and_b32 vcc_lo, exec_lo, s1
	s_cbranch_vccz .LBB68_33
.LBB68_11:                              ; =>This Loop Header: Depth=1
                                        ;     Child Loop BB68_14 Depth 2
                                        ;       Child Loop BB68_20 Depth 3
	v_mov_b32_e32 v27, 0
	v_mov_b32_e32 v28, 0
	v_or_b32_e64 v26, s3, 0
	v_or_b32_e32 v25, s2, v8
	s_delay_alu instid0(VALU_DEP_3)
	v_dual_mov_b32 v30, v28 :: v_dual_mov_b32 v29, v27
	s_and_saveexec_b32 s24, s0
	s_cbranch_execz .LBB68_22
; %bb.12:                               ;   in Loop: Header=BB68_11 Depth=1
	s_delay_alu instid0(VALU_DEP_2) | instskip(SKIP_3) | instid1(VALU_DEP_4)
	v_lshlrev_b64 v[0:1], 4, v[25:26]
	v_dual_mov_b32 v27, 0 :: v_dual_mov_b32 v32, v22
	v_dual_mov_b32 v28, 0 :: v_dual_mov_b32 v31, v21
	v_cmp_gt_i64_e32 vcc_lo, s[18:19], v[25:26]
	v_add_co_u32 v41, s1, s10, v0
	s_delay_alu instid0(VALU_DEP_1) | instskip(NEXT) | instid1(VALU_DEP_4)
	v_add_co_ci_u32_e64 v42, s1, s11, v1, s1
	v_dual_mov_b32 v30, v28 :: v_dual_mov_b32 v29, v27
	s_mov_b32 s25, 0
	s_branch .LBB68_14
.LBB68_13:                              ;   in Loop: Header=BB68_14 Depth=2
	s_or_b32 exec_lo, exec_lo, s16
	v_add_co_u32 v31, s1, v31, 64
	s_delay_alu instid0(VALU_DEP_1) | instskip(NEXT) | instid1(VALU_DEP_1)
	v_add_co_ci_u32_e64 v32, s1, 0, v32, s1
	v_cmp_ge_i64_e64 s1, v[31:32], v[23:24]
	s_delay_alu instid0(VALU_DEP_1) | instskip(NEXT) | instid1(SALU_CYCLE_1)
	s_or_b32 s25, s1, s25
	s_and_not1_b32 exec_lo, exec_lo, s25
	s_cbranch_execz .LBB68_21
.LBB68_14:                              ;   Parent Loop BB68_11 Depth=1
                                        ; =>  This Loop Header: Depth=2
                                        ;       Child Loop BB68_20 Depth 3
	v_add_co_u32 v33, s1, v31, v8
	s_delay_alu instid0(VALU_DEP_1) | instskip(NEXT) | instid1(VALU_DEP_1)
	v_add_co_ci_u32_e64 v34, s1, 0, v32, s1
                                        ; implicit-def: $sgpr16_sgpr17
	v_cmp_ge_i64_e64 s1, v[33:34], v[23:24]
	s_delay_alu instid0(VALU_DEP_1) | instskip(NEXT) | instid1(SALU_CYCLE_1)
	s_and_saveexec_b32 s26, s1
	s_xor_b32 s1, exec_lo, s26
	s_cbranch_execz .LBB68_16
; %bb.15:                               ;   in Loop: Header=BB68_14 Depth=2
	v_mov_b32_e32 v18, v17
	s_mov_b64 s[16:17], 0
                                        ; implicit-def: $vgpr33_vgpr34
	ds_store_b64 v35, v[17:18]
.LBB68_16:                              ;   in Loop: Header=BB68_14 Depth=2
	s_or_saveexec_b32 s26, s1
	v_dual_mov_b32 v4, s16 :: v_dual_mov_b32 v5, s17
	v_dual_mov_b32 v6, s16 :: v_dual_mov_b32 v7, s17
	;; [unrolled: 1-line block ×4, first 2 shown]
	s_xor_b32 exec_lo, exec_lo, s26
	s_cbranch_execz .LBB68_18
; %bb.17:                               ;   in Loop: Header=BB68_14 Depth=2
	v_lshlrev_b64 v[0:1], 2, v[33:34]
	v_lshlrev_b64 v[2:3], 3, v[33:34]
	s_delay_alu instid0(VALU_DEP_2) | instskip(NEXT) | instid1(VALU_DEP_3)
	v_or_b32_e32 v1, v1, v20
	v_or_b32_e32 v0, v0, v19
	s_delay_alu instid0(VALU_DEP_3) | instskip(NEXT) | instid1(VALU_DEP_1)
	v_add_co_u32 v2, s1, s6, v2
	v_add_co_ci_u32_e64 v3, s1, s7, v3, s1
	s_delay_alu instid0(VALU_DEP_4) | instskip(NEXT) | instid1(VALU_DEP_4)
	v_or_b32_e32 v5, 0, v1
	v_or_b32_e32 v4, s21, v0
	v_lshlrev_b64 v[0:1], 4, v[0:1]
	global_load_b64 v[33:34], v[2:3], off
	v_lshlrev_b64 v[2:3], 4, v[4:5]
	v_add_co_u32 v0, s1, s8, v0
	s_delay_alu instid0(VALU_DEP_1) | instskip(NEXT) | instid1(VALU_DEP_3)
	v_add_co_ci_u32_e64 v1, s1, s9, v1, s1
	v_add_co_u32 v2, s1, s8, v2
	s_delay_alu instid0(VALU_DEP_1)
	v_add_co_ci_u32_e64 v3, s1, s9, v3, s1
	s_clause 0x1
	global_load_b128 v[4:7], v[0:1], off
	global_load_b128 v[0:3], v[2:3], off
	s_waitcnt vmcnt(2)
	v_sub_co_u32 v33, s1, v33, s22
	s_delay_alu instid0(VALU_DEP_1) | instskip(NEXT) | instid1(VALU_DEP_1)
	v_subrev_co_ci_u32_e64 v34, s1, 0, v34, s1
	v_lshlrev_b64 v[33:34], 1, v[33:34]
	ds_store_b64 v35, v[33:34]
.LBB68_18:                              ;   in Loop: Header=BB68_14 Depth=2
	s_or_b32 exec_lo, exec_lo, s26
	s_waitcnt vmcnt(1)
	ds_store_b128 v36, v[4:7]
	s_waitcnt vmcnt(0)
	ds_store_b128 v36, v[0:3] offset:16
	s_waitcnt lgkmcnt(0)
	s_waitcnt_vscnt null, 0x0
	s_barrier
	buffer_gl0_inv
	s_and_saveexec_b32 s16, vcc_lo
	s_cbranch_execz .LBB68_13
; %bb.19:                               ;   in Loop: Header=BB68_14 Depth=2
	v_mov_b32_e32 v0, 0
	s_mov_b32 s17, 0
.LBB68_20:                              ;   Parent Loop BB68_11 Depth=1
                                        ;     Parent Loop BB68_14 Depth=2
                                        ; =>    This Inner Loop Header: Depth=3
	s_delay_alu instid0(SALU_CYCLE_1) | instskip(SKIP_1) | instid1(SALU_CYCLE_1)
	v_add_nc_u32_e64 v1, 0xc00, s17
	s_add_i32 s17, s17, 16
	s_cmpk_lg_i32 s17, 0x200
	ds_load_b128 v[1:4], v1
	s_waitcnt lgkmcnt(0)
	v_mul_lo_u32 v2, v2, s4
	v_mul_lo_u32 v7, v1, s5
	v_mad_u64_u32 v[5:6], null, v1, s4, 0
	v_mul_lo_u32 v4, v4, s4
	s_delay_alu instid0(VALU_DEP_2) | instskip(NEXT) | instid1(VALU_DEP_1)
	v_add3_u32 v6, v6, v7, v2
	v_lshlrev_b64 v[1:2], 4, v[5:6]
	v_mul_lo_u32 v5, v3, s5
	s_delay_alu instid0(VALU_DEP_2) | instskip(NEXT) | instid1(VALU_DEP_1)
	v_add_co_u32 v1, s1, v41, v1
	v_add_co_ci_u32_e64 v2, s1, v42, v2, s1
	global_load_b128 v[43:46], v[1:2], off
	v_add_co_u32 v1, s1, v1, s12
	s_delay_alu instid0(VALU_DEP_1) | instskip(SKIP_2) | instid1(VALU_DEP_1)
	v_add_co_ci_u32_e64 v2, s1, s13, v2, s1
	global_load_b128 v[47:50], v[1:2], off
	v_mad_u64_u32 v[1:2], null, v3, s4, 0
	v_add3_u32 v2, v2, v5, v4
	s_delay_alu instid0(VALU_DEP_1) | instskip(NEXT) | instid1(VALU_DEP_1)
	v_lshlrev_b64 v[1:2], 4, v[1:2]
	v_add_co_u32 v5, s1, v41, v1
	s_delay_alu instid0(VALU_DEP_1) | instskip(SKIP_2) | instid1(VALU_DEP_1)
	v_add_co_ci_u32_e64 v6, s1, v42, v2, s1
	global_load_b128 v[1:4], v[5:6], off
	v_add_co_u32 v5, s1, v5, s12
	v_add_co_ci_u32_e64 v6, s1, s13, v6, s1
	global_load_b128 v[51:54], v[5:6], off
	ds_load_b128 v[55:58], v0
	ds_load_b128 v[59:62], v0 offset:16
	s_waitcnt vmcnt(3) lgkmcnt(1)
	v_fma_f64 v[5:6], v[55:56], v[43:44], v[29:30]
	v_fma_f64 v[27:28], v[57:58], v[43:44], v[27:28]
	s_delay_alu instid0(VALU_DEP_2) | instskip(NEXT) | instid1(VALU_DEP_2)
	v_fma_f64 v[5:6], -v[57:58], v[45:46], v[5:6]
	v_fma_f64 v[27:28], v[55:56], v[45:46], v[27:28]
	s_waitcnt vmcnt(2) lgkmcnt(0)
	s_delay_alu instid0(VALU_DEP_2) | instskip(NEXT) | instid1(VALU_DEP_2)
	v_fma_f64 v[5:6], v[59:60], v[47:48], v[5:6]
	v_fma_f64 v[27:28], v[61:62], v[47:48], v[27:28]
	s_delay_alu instid0(VALU_DEP_2) | instskip(NEXT) | instid1(VALU_DEP_2)
	v_fma_f64 v[5:6], -v[61:62], v[49:50], v[5:6]
	v_fma_f64 v[33:34], v[59:60], v[49:50], v[27:28]
	ds_load_b128 v[27:30], v0 offset:48
	ds_load_b128 v[43:46], v0 offset:64
	v_add_nc_u32_e32 v0, 0x60, v0
	s_waitcnt vmcnt(1) lgkmcnt(1)
	v_fma_f64 v[5:6], v[27:28], v[1:2], v[5:6]
	v_fma_f64 v[1:2], v[29:30], v[1:2], v[33:34]
	s_delay_alu instid0(VALU_DEP_2) | instskip(NEXT) | instid1(VALU_DEP_2)
	v_fma_f64 v[5:6], -v[29:30], v[3:4], v[5:6]
	v_fma_f64 v[1:2], v[27:28], v[3:4], v[1:2]
	s_waitcnt vmcnt(0) lgkmcnt(0)
	s_delay_alu instid0(VALU_DEP_2) | instskip(NEXT) | instid1(VALU_DEP_2)
	v_fma_f64 v[3:4], v[43:44], v[51:52], v[5:6]
	v_fma_f64 v[1:2], v[45:46], v[51:52], v[1:2]
	s_delay_alu instid0(VALU_DEP_2) | instskip(NEXT) | instid1(VALU_DEP_2)
	v_fma_f64 v[29:30], -v[45:46], v[53:54], v[3:4]
	v_fma_f64 v[27:28], v[43:44], v[53:54], v[1:2]
	s_cbranch_scc1 .LBB68_20
	s_branch .LBB68_13
.LBB68_21:                              ;   in Loop: Header=BB68_11 Depth=1
	s_or_b32 exec_lo, exec_lo, s25
.LBB68_22:                              ;   in Loop: Header=BB68_11 Depth=1
	s_delay_alu instid0(SALU_CYCLE_1) | instskip(NEXT) | instid1(SALU_CYCLE_1)
	s_or_b32 exec_lo, exec_lo, s24
	s_mov_b32 s1, exec_lo
	v_cmpx_gt_i64_e64 s[18:19], v[25:26]
	s_cbranch_execz .LBB68_10
; %bb.23:                               ;   in Loop: Header=BB68_11 Depth=1
	s_and_saveexec_b32 s16, s23
	s_delay_alu instid0(SALU_CYCLE_1)
	s_xor_b32 s16, exec_lo, s16
	s_cbranch_execz .LBB68_28
; %bb.24:                               ;   in Loop: Header=BB68_11 Depth=1
	s_and_b32 vcc_lo, exec_lo, s20
	s_mov_b32 s17, -1
	s_cbranch_vccz .LBB68_26
; %bb.25:                               ;   in Loop: Header=BB68_11 Depth=1
	v_lshlrev_b64 v[0:1], 4, v[25:26]
	v_mul_f64 v[6:7], v[27:28], -v[11:12]
	v_mul_f64 v[31:32], v[9:10], v[27:28]
	s_mov_b32 s17, 0
	s_delay_alu instid0(VALU_DEP_3) | instskip(NEXT) | instid1(VALU_DEP_4)
	v_add_co_u32 v4, vcc_lo, v37, v0
	v_add_co_ci_u32_e32 v5, vcc_lo, v38, v1, vcc_lo
	global_load_b128 v[0:3], v[4:5], off
	v_fma_f64 v[6:7], v[9:10], v[29:30], v[6:7]
	v_fma_f64 v[31:32], v[11:12], v[29:30], v[31:32]
	s_waitcnt vmcnt(0)
	s_delay_alu instid0(VALU_DEP_2) | instskip(NEXT) | instid1(VALU_DEP_2)
	v_fma_f64 v[6:7], v[13:14], v[0:1], v[6:7]
	v_fma_f64 v[31:32], v[15:16], v[0:1], v[31:32]
	s_delay_alu instid0(VALU_DEP_2) | instskip(NEXT) | instid1(VALU_DEP_2)
	v_fma_f64 v[0:1], -v[15:16], v[2:3], v[6:7]
	v_fma_f64 v[2:3], v[13:14], v[2:3], v[31:32]
	global_store_b128 v[4:5], v[0:3], off
.LBB68_26:                              ;   in Loop: Header=BB68_11 Depth=1
	s_and_not1_b32 vcc_lo, exec_lo, s17
	s_cbranch_vccnz .LBB68_28
; %bb.27:                               ;   in Loop: Header=BB68_11 Depth=1
	v_mul_lo_u32 v2, v26, s14
	v_mul_lo_u32 v3, v25, s15
	v_mad_u64_u32 v[0:1], null, v25, s14, 0
	v_mul_f64 v[6:7], v[27:28], -v[11:12]
	v_mul_f64 v[25:26], v[9:10], v[27:28]
                                        ; implicit-def: $vgpr27_vgpr28
	s_delay_alu instid0(VALU_DEP_3) | instskip(NEXT) | instid1(VALU_DEP_1)
	v_add3_u32 v1, v1, v3, v2
	v_lshlrev_b64 v[0:1], 4, v[0:1]
	s_delay_alu instid0(VALU_DEP_1) | instskip(NEXT) | instid1(VALU_DEP_2)
	v_add_co_u32 v4, vcc_lo, v39, v0
	v_add_co_ci_u32_e32 v5, vcc_lo, v40, v1, vcc_lo
	global_load_b128 v[0:3], v[4:5], off
	v_fma_f64 v[6:7], v[9:10], v[29:30], v[6:7]
	v_fma_f64 v[25:26], v[11:12], v[29:30], v[25:26]
                                        ; implicit-def: $vgpr29_vgpr30
	s_waitcnt vmcnt(0)
	s_delay_alu instid0(VALU_DEP_2) | instskip(NEXT) | instid1(VALU_DEP_2)
	v_fma_f64 v[6:7], v[13:14], v[0:1], v[6:7]
	v_fma_f64 v[25:26], v[15:16], v[0:1], v[25:26]
	s_delay_alu instid0(VALU_DEP_2) | instskip(NEXT) | instid1(VALU_DEP_2)
	v_fma_f64 v[0:1], -v[15:16], v[2:3], v[6:7]
	v_fma_f64 v[2:3], v[13:14], v[2:3], v[25:26]
                                        ; implicit-def: $vgpr25_vgpr26
	global_store_b128 v[4:5], v[0:3], off
.LBB68_28:                              ;   in Loop: Header=BB68_11 Depth=1
	s_and_not1_saveexec_b32 s16, s16
	s_cbranch_execz .LBB68_10
; %bb.29:                               ;   in Loop: Header=BB68_11 Depth=1
	v_mul_f64 v[0:1], v[27:28], -v[11:12]
	v_mul_f64 v[2:3], v[9:10], v[27:28]
	s_and_b32 vcc_lo, exec_lo, s20
	s_mov_b32 s16, -1
	s_delay_alu instid0(VALU_DEP_2) | instskip(NEXT) | instid1(VALU_DEP_2)
	v_fma_f64 v[0:1], v[9:10], v[29:30], v[0:1]
	v_fma_f64 v[2:3], v[11:12], v[29:30], v[2:3]
	s_cbranch_vccz .LBB68_31
; %bb.30:                               ;   in Loop: Header=BB68_11 Depth=1
	v_lshlrev_b64 v[4:5], 4, v[25:26]
	s_mov_b32 s16, 0
	s_delay_alu instid0(VALU_DEP_1) | instskip(NEXT) | instid1(VALU_DEP_2)
	v_add_co_u32 v4, vcc_lo, v37, v4
	v_add_co_ci_u32_e32 v5, vcc_lo, v38, v5, vcc_lo
	global_store_b128 v[4:5], v[0:3], off
.LBB68_31:                              ;   in Loop: Header=BB68_11 Depth=1
	s_and_not1_b32 vcc_lo, exec_lo, s16
	s_cbranch_vccnz .LBB68_10
; %bb.32:                               ;   in Loop: Header=BB68_11 Depth=1
	v_mul_lo_u32 v6, v26, s14
	v_mul_lo_u32 v7, v25, s15
	v_mad_u64_u32 v[4:5], null, v25, s14, 0
	s_delay_alu instid0(VALU_DEP_1) | instskip(NEXT) | instid1(VALU_DEP_1)
	v_add3_u32 v5, v5, v7, v6
	v_lshlrev_b64 v[4:5], 4, v[4:5]
	s_delay_alu instid0(VALU_DEP_1) | instskip(NEXT) | instid1(VALU_DEP_2)
	v_add_co_u32 v4, vcc_lo, v39, v4
	v_add_co_ci_u32_e32 v5, vcc_lo, v40, v5, vcc_lo
	global_store_b128 v[4:5], v[0:3], off
	s_branch .LBB68_10
.LBB68_33:
	s_endpgm
	.section	.rodata,"a",@progbits
	.p2align	6, 0x0
	.amdhsa_kernel _ZN9rocsparseL29bsrmmnt_small_blockdim_kernelILj64ELj64ELj2Ell21rocsparse_complex_numIdES2_S2_S2_EEv20rocsparse_direction_T3_S4_llNS_24const_host_device_scalarIT7_EEPKT2_PKS4_PKT4_PKT5_llS7_PT6_ll16rocsparse_order_21rocsparse_index_base_b
		.amdhsa_group_segment_fixed_size 4096
		.amdhsa_private_segment_fixed_size 16
		.amdhsa_kernarg_size 416
		.amdhsa_user_sgpr_count 15
		.amdhsa_user_sgpr_dispatch_ptr 1
		.amdhsa_user_sgpr_queue_ptr 0
		.amdhsa_user_sgpr_kernarg_segment_ptr 1
		.amdhsa_user_sgpr_dispatch_id 0
		.amdhsa_user_sgpr_private_segment_size 0
		.amdhsa_wavefront_size32 1
		.amdhsa_uses_dynamic_stack 0
		.amdhsa_enable_private_segment 1
		.amdhsa_system_sgpr_workgroup_id_x 1
		.amdhsa_system_sgpr_workgroup_id_y 0
		.amdhsa_system_sgpr_workgroup_id_z 0
		.amdhsa_system_sgpr_workgroup_info 0
		.amdhsa_system_vgpr_workitem_id 2
		.amdhsa_next_free_vgpr 63
		.amdhsa_next_free_sgpr 27
		.amdhsa_reserve_vcc 1
		.amdhsa_float_round_mode_32 0
		.amdhsa_float_round_mode_16_64 0
		.amdhsa_float_denorm_mode_32 3
		.amdhsa_float_denorm_mode_16_64 3
		.amdhsa_dx10_clamp 1
		.amdhsa_ieee_mode 1
		.amdhsa_fp16_overflow 0
		.amdhsa_workgroup_processor_mode 1
		.amdhsa_memory_ordered 1
		.amdhsa_forward_progress 0
		.amdhsa_shared_vgpr_count 0
		.amdhsa_exception_fp_ieee_invalid_op 0
		.amdhsa_exception_fp_denorm_src 0
		.amdhsa_exception_fp_ieee_div_zero 0
		.amdhsa_exception_fp_ieee_overflow 0
		.amdhsa_exception_fp_ieee_underflow 0
		.amdhsa_exception_fp_ieee_inexact 0
		.amdhsa_exception_int_div_zero 0
	.end_amdhsa_kernel
	.section	.text._ZN9rocsparseL29bsrmmnt_small_blockdim_kernelILj64ELj64ELj2Ell21rocsparse_complex_numIdES2_S2_S2_EEv20rocsparse_direction_T3_S4_llNS_24const_host_device_scalarIT7_EEPKT2_PKS4_PKT4_PKT5_llS7_PT6_ll16rocsparse_order_21rocsparse_index_base_b,"axG",@progbits,_ZN9rocsparseL29bsrmmnt_small_blockdim_kernelILj64ELj64ELj2Ell21rocsparse_complex_numIdES2_S2_S2_EEv20rocsparse_direction_T3_S4_llNS_24const_host_device_scalarIT7_EEPKT2_PKS4_PKT4_PKT5_llS7_PT6_ll16rocsparse_order_21rocsparse_index_base_b,comdat
.Lfunc_end68:
	.size	_ZN9rocsparseL29bsrmmnt_small_blockdim_kernelILj64ELj64ELj2Ell21rocsparse_complex_numIdES2_S2_S2_EEv20rocsparse_direction_T3_S4_llNS_24const_host_device_scalarIT7_EEPKT2_PKS4_PKT4_PKT5_llS7_PT6_ll16rocsparse_order_21rocsparse_index_base_b, .Lfunc_end68-_ZN9rocsparseL29bsrmmnt_small_blockdim_kernelILj64ELj64ELj2Ell21rocsparse_complex_numIdES2_S2_S2_EEv20rocsparse_direction_T3_S4_llNS_24const_host_device_scalarIT7_EEPKT2_PKS4_PKT4_PKT5_llS7_PT6_ll16rocsparse_order_21rocsparse_index_base_b
                                        ; -- End function
	.section	.AMDGPU.csdata,"",@progbits
; Kernel info:
; codeLenInByte = 2216
; NumSgprs: 29
; NumVgprs: 63
; ScratchSize: 16
; MemoryBound: 1
; FloatMode: 240
; IeeeMode: 1
; LDSByteSize: 4096 bytes/workgroup (compile time only)
; SGPRBlocks: 3
; VGPRBlocks: 7
; NumSGPRsForWavesPerEU: 29
; NumVGPRsForWavesPerEU: 63
; Occupancy: 16
; WaveLimiterHint : 1
; COMPUTE_PGM_RSRC2:SCRATCH_EN: 1
; COMPUTE_PGM_RSRC2:USER_SGPR: 15
; COMPUTE_PGM_RSRC2:TRAP_HANDLER: 0
; COMPUTE_PGM_RSRC2:TGID_X_EN: 1
; COMPUTE_PGM_RSRC2:TGID_Y_EN: 0
; COMPUTE_PGM_RSRC2:TGID_Z_EN: 0
; COMPUTE_PGM_RSRC2:TIDIG_COMP_CNT: 2
	.section	.text._ZN9rocsparseL29bsrmmnt_small_blockdim_kernelILj64ELj8ELj2EiiDF16_DF16_ffEEv20rocsparse_direction_T3_S2_llNS_24const_host_device_scalarIT7_EEPKT2_PKS2_PKT4_PKT5_llS5_PT6_ll16rocsparse_order_21rocsparse_index_base_b,"axG",@progbits,_ZN9rocsparseL29bsrmmnt_small_blockdim_kernelILj64ELj8ELj2EiiDF16_DF16_ffEEv20rocsparse_direction_T3_S2_llNS_24const_host_device_scalarIT7_EEPKT2_PKS2_PKT4_PKT5_llS5_PT6_ll16rocsparse_order_21rocsparse_index_base_b,comdat
	.globl	_ZN9rocsparseL29bsrmmnt_small_blockdim_kernelILj64ELj8ELj2EiiDF16_DF16_ffEEv20rocsparse_direction_T3_S2_llNS_24const_host_device_scalarIT7_EEPKT2_PKS2_PKT4_PKT5_llS5_PT6_ll16rocsparse_order_21rocsparse_index_base_b ; -- Begin function _ZN9rocsparseL29bsrmmnt_small_blockdim_kernelILj64ELj8ELj2EiiDF16_DF16_ffEEv20rocsparse_direction_T3_S2_llNS_24const_host_device_scalarIT7_EEPKT2_PKS2_PKT4_PKT5_llS5_PT6_ll16rocsparse_order_21rocsparse_index_base_b
	.p2align	8
	.type	_ZN9rocsparseL29bsrmmnt_small_blockdim_kernelILj64ELj8ELj2EiiDF16_DF16_ffEEv20rocsparse_direction_T3_S2_llNS_24const_host_device_scalarIT7_EEPKT2_PKS2_PKT4_PKT5_llS5_PT6_ll16rocsparse_order_21rocsparse_index_base_b,@function
_ZN9rocsparseL29bsrmmnt_small_blockdim_kernelILj64ELj8ELj2EiiDF16_DF16_ffEEv20rocsparse_direction_T3_S2_llNS_24const_host_device_scalarIT7_EEPKT2_PKS2_PKT4_PKT5_llS5_PT6_ll16rocsparse_order_21rocsparse_index_base_b: ; @_ZN9rocsparseL29bsrmmnt_small_blockdim_kernelILj64ELj8ELj2EiiDF16_DF16_ffEEv20rocsparse_direction_T3_S2_llNS_24const_host_device_scalarIT7_EEPKT2_PKS2_PKT4_PKT5_llS5_PT6_ll16rocsparse_order_21rocsparse_index_base_b
; %bb.0:
	s_clause 0x2
	s_load_b128 s[16:19], s[0:1], 0x78
	s_load_b64 s[2:3], s[0:1], 0x20
	s_load_b64 s[24:25], s[0:1], 0x58
	s_waitcnt lgkmcnt(0)
	s_bitcmp1_b32 s18, 0
	s_cselect_b32 s4, -1, 0
	s_delay_alu instid0(SALU_CYCLE_1)
	s_and_b32 vcc_lo, exec_lo, s4
	s_xor_b32 s4, s4, -1
	s_cbranch_vccnz .LBB69_2
; %bb.1:
	s_load_b32 s2, s[2:3], 0x0
.LBB69_2:
	s_and_not1_b32 vcc_lo, exec_lo, s4
	s_cbranch_vccnz .LBB69_4
; %bb.3:
	s_load_b32 s24, s[24:25], 0x0
.LBB69_4:
	s_waitcnt lgkmcnt(0)
	v_cmp_eq_f32_e64 s3, s2, 0
	v_cmp_eq_f32_e64 s4, s24, 1.0
	s_delay_alu instid0(VALU_DEP_1) | instskip(NEXT) | instid1(SALU_CYCLE_1)
	s_and_b32 s3, s3, s4
	s_and_b32 vcc_lo, exec_lo, s3
	s_cbranch_vccnz .LBB69_30
; %bb.5:
	s_clause 0x1
	s_load_b32 s3, s[0:1], 0x94
	s_load_b128 s[20:23], s[0:1], 0x0
	s_waitcnt lgkmcnt(0)
	s_and_b32 s3, s3, 0xffff
	s_delay_alu instid0(SALU_CYCLE_1) | instskip(SKIP_1) | instid1(VALU_DEP_1)
	v_mad_u64_u32 v[1:2], null, s15, s3, v[0:1]
	s_mov_b32 s3, exec_lo
	v_lshrrev_b32_e32 v2, 4, v1
	s_delay_alu instid0(VALU_DEP_1)
	v_cmpx_gt_i32_e64 s21, v2
	s_cbranch_execz .LBB69_30
; %bb.6:
	s_cmp_lt_i32 s22, 1
	s_cbranch_scc1 .LBB69_30
; %bb.7:
	s_load_b256 s[4:11], s[0:1], 0x28
	v_lshlrev_b32_e32 v2, 2, v2
	s_load_b128 s[12:15], s[0:1], 0x60
	v_lshrrev_b32_e32 v10, 3, v1
	s_cmp_lg_u32 s16, 1
	v_bfe_u32 v17, v1, 3, 1
	s_cselect_b32 s16, -1, 0
	s_cmp_eq_u32 s20, 0
	v_and_b32_e32 v6, 7, v0
	v_lshrrev_b32_e32 v11, 3, v0
	v_lshlrev_b32_e32 v12, 2, v10
	v_cmp_neq_f32_e64 s3, s24, 0
	s_delay_alu instid0(VALU_DEP_3)
	v_lshl_add_u32 v7, v11, 5, 0x180
	s_waitcnt lgkmcnt(0)
	global_load_b64 v[2:3], v2, s[4:5]
	s_load_b64 s[4:5], s[0:1], 0x48
	v_mad_u64_u32 v[4:5], null, v10, s14, 0
	s_cselect_b32 s1, -1, 0
	s_delay_alu instid0(SALU_CYCLE_1) | instskip(SKIP_1) | instid1(VALU_DEP_1)
	v_cndmask_b32_e64 v18, 0, 1, s1
	s_and_b32 s1, s1, exec_lo
	v_dual_mov_b32 v0, v5 :: v_dual_lshlrev_b32 v17, v18, v17
	s_delay_alu instid0(VALU_DEP_1) | instskip(SKIP_1) | instid1(VALU_DEP_2)
	v_mad_u64_u32 v[8:9], null, v10, s15, v[0:1]
	v_mov_b32_e32 v1, 0
	v_mov_b32_e32 v5, v8
	v_mul_u32_u24_e32 v0, 3, v6
	v_mul_u32_u24_e32 v8, 48, v11
	v_lshl_or_b32 v9, v6, 2, v7
	s_delay_alu instid0(VALU_DEP_4) | instskip(NEXT) | instid1(VALU_DEP_4)
	v_lshlrev_b64 v[4:5], 2, v[4:5]
	v_lshlrev_b32_e32 v0, 1, v0
	s_delay_alu instid0(VALU_DEP_1) | instskip(SKIP_1) | instid1(VALU_DEP_4)
	v_mad_u32_u24 v10, v11, 48, v0
	v_add_co_u32 v11, s0, s12, v12
	v_add_co_u32 v13, vcc_lo, s12, v4
	v_add_co_ci_u32_e64 v12, null, s13, 0, s0
	v_add_co_ci_u32_e32 v14, vcc_lo, s13, v5, vcc_lo
	s_mov_b32 s12, 0
	s_cselect_b32 s13, 1, 2
	s_waitcnt vmcnt(0)
	v_subrev_nc_u32_e32 v15, s17, v2
	v_subrev_nc_u32_e32 v16, s17, v3
	v_cmp_lt_i32_e64 s0, v2, v3
	s_branch .LBB69_9
.LBB69_8:                               ;   in Loop: Header=BB69_9 Depth=1
	s_or_b32 exec_lo, exec_lo, s1
	s_add_i32 s12, s12, 8
	s_delay_alu instid0(SALU_CYCLE_1)
	s_cmp_lt_i32 s12, s22
	s_cbranch_scc0 .LBB69_30
.LBB69_9:                               ; =>This Loop Header: Depth=1
                                        ;     Child Loop BB69_12 Depth 2
                                        ;       Child Loop BB69_16 Depth 3
	v_or_b32_e32 v2, s12, v6
	v_mov_b32_e32 v18, v1
	s_delay_alu instid0(VALU_DEP_2)
	v_ashrrev_i32_e32 v3, 31, v2
	s_and_saveexec_b32 s18, s0
	s_cbranch_execz .LBB69_18
; %bb.10:                               ;   in Loop: Header=BB69_9 Depth=1
	s_delay_alu instid0(VALU_DEP_1) | instskip(SKIP_3) | instid1(VALU_DEP_3)
	v_lshlrev_b64 v[4:5], 1, v[2:3]
	v_cmp_gt_i32_e32 vcc_lo, s22, v2
	v_dual_mov_b32 v18, 0 :: v_dual_mov_b32 v21, v15
	s_mov_b32 s19, 0
	v_add_co_u32 v19, s1, s10, v4
	s_delay_alu instid0(VALU_DEP_1)
	v_add_co_ci_u32_e64 v20, s1, s11, v5, s1
	s_branch .LBB69_12
.LBB69_11:                              ;   in Loop: Header=BB69_12 Depth=2
	s_or_b32 exec_lo, exec_lo, s20
	v_add_nc_u32_e32 v21, 8, v21
	s_delay_alu instid0(VALU_DEP_1) | instskip(NEXT) | instid1(VALU_DEP_1)
	v_cmp_ge_i32_e64 s1, v21, v16
	s_or_b32 s19, s1, s19
	s_delay_alu instid0(SALU_CYCLE_1)
	s_and_not1_b32 exec_lo, exec_lo, s19
	s_cbranch_execz .LBB69_17
.LBB69_12:                              ;   Parent Loop BB69_9 Depth=1
                                        ; =>  This Loop Header: Depth=2
                                        ;       Child Loop BB69_16 Depth 3
	v_add_nc_u32_e32 v4, v21, v6
	v_mov_b32_e32 v0, 0
	v_mov_b32_e32 v22, 0
	s_mov_b32 s20, exec_lo
	s_delay_alu instid0(VALU_DEP_3)
	v_cmpx_lt_i32_e64 v4, v16
	s_cbranch_execz .LBB69_14
; %bb.13:                               ;   in Loop: Header=BB69_12 Depth=2
	v_lshl_or_b32 v0, v4, 2, v17
	v_ashrrev_i32_e32 v5, 31, v4
	s_delay_alu instid0(VALU_DEP_2) | instskip(NEXT) | instid1(VALU_DEP_2)
	v_lshlrev_b64 v[22:23], 1, v[0:1]
	v_lshlrev_b64 v[4:5], 2, v[4:5]
	v_or_b32_e32 v0, s13, v0
	s_delay_alu instid0(VALU_DEP_3) | instskip(NEXT) | instid1(VALU_DEP_1)
	v_add_co_u32 v22, s1, s8, v22
	v_add_co_ci_u32_e64 v23, s1, s9, v23, s1
	s_delay_alu instid0(VALU_DEP_4) | instskip(NEXT) | instid1(VALU_DEP_1)
	v_add_co_u32 v4, s1, s6, v4
	v_add_co_ci_u32_e64 v5, s1, s7, v5, s1
	global_load_u16 v22, v[22:23], off
	v_lshlrev_b64 v[23:24], 1, v[0:1]
	global_load_b32 v0, v[4:5], off
	v_add_co_u32 v4, s1, s8, v23
	s_delay_alu instid0(VALU_DEP_1) | instskip(SKIP_3) | instid1(VALU_DEP_1)
	v_add_co_ci_u32_e64 v5, s1, s9, v24, s1
	global_load_d16_hi_b16 v22, v[4:5], off
	s_waitcnt vmcnt(1)
	v_subrev_nc_u32_e32 v0, s17, v0
	v_lshlrev_b32_e32 v0, 1, v0
.LBB69_14:                              ;   in Loop: Header=BB69_12 Depth=2
	s_or_b32 exec_lo, exec_lo, s20
	ds_store_b32 v9, v0
	s_waitcnt vmcnt(0)
	ds_store_b32 v10, v22
	s_waitcnt lgkmcnt(0)
	s_waitcnt_vscnt null, 0x0
	s_barrier
	buffer_gl0_inv
	s_and_saveexec_b32 s20, vcc_lo
	s_cbranch_execz .LBB69_11
; %bb.15:                               ;   in Loop: Header=BB69_12 Depth=2
	v_mov_b32_e32 v0, v8
	s_mov_b32 s21, 0
.LBB69_16:                              ;   Parent Loop BB69_9 Depth=1
                                        ;     Parent Loop BB69_12 Depth=2
                                        ; =>    This Inner Loop Header: Depth=3
	s_delay_alu instid0(SALU_CYCLE_1) | instskip(SKIP_1) | instid1(SALU_CYCLE_1)
	v_add_nc_u32_e32 v4, s21, v7
	s_add_i32 s21, s21, 8
	s_cmp_lg_u32 s21, 32
	ds_load_b64 v[4:5], v4
	s_waitcnt lgkmcnt(0)
	v_ashrrev_i32_e32 v26, 31, v4
	v_add_nc_u32_e32 v27, 1, v4
	v_mul_lo_u32 v28, v4, s5
	v_mad_u64_u32 v[22:23], null, v4, s4, 0
	v_add_nc_u32_e32 v31, 1, v5
	v_mul_lo_u32 v32, v26, s4
	v_ashrrev_i32_e32 v33, 31, v27
	v_ashrrev_i32_e32 v29, 31, v5
	v_mul_lo_u32 v30, v5, s5
	v_mad_u64_u32 v[24:25], null, v5, s4, 0
	v_mul_lo_u32 v34, v27, s5
	v_mad_u64_u32 v[4:5], null, v27, s4, 0
	v_ashrrev_i32_e32 v35, 31, v31
	v_mul_lo_u32 v36, v31, s5
	v_mad_u64_u32 v[26:27], null, v31, s4, 0
	v_mul_lo_u32 v31, v33, s4
	v_add3_u32 v23, v23, v28, v32
	v_mul_lo_u32 v29, v29, s4
	v_mul_lo_u32 v33, v35, s4
	s_delay_alu instid0(VALU_DEP_3) | instskip(SKIP_1) | instid1(VALU_DEP_4)
	v_lshlrev_b64 v[22:23], 1, v[22:23]
	v_add3_u32 v5, v5, v34, v31
	v_add3_u32 v25, v25, v30, v29
	s_delay_alu instid0(VALU_DEP_4) | instskip(NEXT) | instid1(VALU_DEP_4)
	v_add3_u32 v27, v27, v36, v33
	v_add_co_u32 v22, s1, v19, v22
	s_delay_alu instid0(VALU_DEP_4) | instskip(SKIP_3) | instid1(VALU_DEP_4)
	v_lshlrev_b64 v[4:5], 1, v[4:5]
	v_add_co_ci_u32_e64 v23, s1, v20, v23, s1
	v_lshlrev_b64 v[24:25], 1, v[24:25]
	v_lshlrev_b64 v[26:27], 1, v[26:27]
	v_add_co_u32 v4, s1, v19, v4
	global_load_u16 v28, v[22:23], off
	v_add_co_ci_u32_e64 v5, s1, v20, v5, s1
	v_add_co_u32 v22, s1, v19, v24
	s_delay_alu instid0(VALU_DEP_1) | instskip(SKIP_2) | instid1(VALU_DEP_1)
	v_add_co_ci_u32_e64 v23, s1, v20, v25, s1
	global_load_u16 v24, v[4:5], off
	v_add_co_u32 v4, s1, v19, v26
	v_add_co_ci_u32_e64 v5, s1, v20, v27, s1
	s_clause 0x1
	global_load_u16 v22, v[22:23], off
	global_load_u16 v4, v[4:5], off
	ds_load_b32 v5, v0
	ds_load_u16 v23, v0 offset:6
	ds_load_u16 v25, v0 offset:8
	v_add_nc_u32_e32 v0, 12, v0
	s_waitcnt vmcnt(3) lgkmcnt(2)
	v_fma_mix_f32 v18, v5, v28, v18 op_sel_hi:[1,1,0]
	s_waitcnt vmcnt(2)
	s_delay_alu instid0(VALU_DEP_1) | instskip(SKIP_1) | instid1(VALU_DEP_1)
	v_fma_mix_f32 v5, v5, v24, v18 op_sel:[1,0,0] op_sel_hi:[1,1,0]
	s_waitcnt vmcnt(1) lgkmcnt(1)
	v_fma_mix_f32 v5, v23, v22, v5 op_sel_hi:[1,1,0]
	s_waitcnt vmcnt(0) lgkmcnt(0)
	s_delay_alu instid0(VALU_DEP_1)
	v_fma_mix_f32 v18, v25, v4, v5 op_sel_hi:[1,1,0]
	s_cbranch_scc1 .LBB69_16
	s_branch .LBB69_11
.LBB69_17:                              ;   in Loop: Header=BB69_9 Depth=1
	s_or_b32 exec_lo, exec_lo, s19
.LBB69_18:                              ;   in Loop: Header=BB69_9 Depth=1
	s_delay_alu instid0(SALU_CYCLE_1) | instskip(NEXT) | instid1(SALU_CYCLE_1)
	s_or_b32 exec_lo, exec_lo, s18
	s_mov_b32 s1, exec_lo
	v_cmpx_gt_i32_e64 s22, v2
	s_cbranch_execz .LBB69_8
; %bb.19:                               ;   in Loop: Header=BB69_9 Depth=1
	s_and_b32 vcc_lo, exec_lo, s3
	s_cbranch_vccz .LBB69_25
; %bb.20:                               ;   in Loop: Header=BB69_9 Depth=1
	s_and_b32 vcc_lo, exec_lo, s16
	s_mov_b32 s18, -1
	s_cbranch_vccz .LBB69_22
; %bb.21:                               ;   in Loop: Header=BB69_9 Depth=1
	v_lshlrev_b64 v[4:5], 2, v[2:3]
	v_mul_f32_e32 v19, s2, v18
	s_mov_b32 s18, 0
	s_delay_alu instid0(VALU_DEP_2) | instskip(NEXT) | instid1(VALU_DEP_3)
	v_add_co_u32 v4, vcc_lo, v13, v4
	v_add_co_ci_u32_e32 v5, vcc_lo, v14, v5, vcc_lo
	global_load_b32 v0, v[4:5], off
	s_waitcnt vmcnt(0)
	v_fmac_f32_e32 v19, s24, v0
	global_store_b32 v[4:5], v19, off
.LBB69_22:                              ;   in Loop: Header=BB69_9 Depth=1
	s_and_not1_b32 vcc_lo, exec_lo, s18
	s_cbranch_vccnz .LBB69_24
; %bb.23:                               ;   in Loop: Header=BB69_9 Depth=1
	v_mul_lo_u32 v0, v3, s14
	v_mul_lo_u32 v19, v2, s15
	v_mad_u64_u32 v[4:5], null, v2, s14, 0
	s_delay_alu instid0(VALU_DEP_1) | instskip(SKIP_1) | instid1(VALU_DEP_2)
	v_add3_u32 v5, v5, v19, v0
	v_mul_f32_e32 v19, s2, v18
	v_lshlrev_b64 v[4:5], 2, v[4:5]
	s_delay_alu instid0(VALU_DEP_1) | instskip(NEXT) | instid1(VALU_DEP_2)
	v_add_co_u32 v4, vcc_lo, v11, v4
	v_add_co_ci_u32_e32 v5, vcc_lo, v12, v5, vcc_lo
	global_load_b32 v0, v[4:5], off
	s_waitcnt vmcnt(0)
	v_fmac_f32_e32 v19, s24, v0
	global_store_b32 v[4:5], v19, off
.LBB69_24:                              ;   in Loop: Header=BB69_9 Depth=1
	s_cbranch_execnz .LBB69_8
	s_branch .LBB69_26
.LBB69_25:                              ;   in Loop: Header=BB69_9 Depth=1
.LBB69_26:                              ;   in Loop: Header=BB69_9 Depth=1
	v_mul_f32_e32 v0, s2, v18
	s_and_b32 vcc_lo, exec_lo, s16
	s_mov_b32 s18, -1
	s_cbranch_vccz .LBB69_28
; %bb.27:                               ;   in Loop: Header=BB69_9 Depth=1
	v_lshlrev_b64 v[4:5], 2, v[2:3]
	s_mov_b32 s18, 0
	s_delay_alu instid0(VALU_DEP_1) | instskip(NEXT) | instid1(VALU_DEP_2)
	v_add_co_u32 v4, vcc_lo, v13, v4
	v_add_co_ci_u32_e32 v5, vcc_lo, v14, v5, vcc_lo
	global_store_b32 v[4:5], v0, off
.LBB69_28:                              ;   in Loop: Header=BB69_9 Depth=1
	s_and_not1_b32 vcc_lo, exec_lo, s18
	s_cbranch_vccnz .LBB69_8
; %bb.29:                               ;   in Loop: Header=BB69_9 Depth=1
	v_mul_lo_u32 v5, v3, s14
	v_mul_lo_u32 v18, v2, s15
	v_mad_u64_u32 v[3:4], null, v2, s14, 0
	s_delay_alu instid0(VALU_DEP_1) | instskip(NEXT) | instid1(VALU_DEP_1)
	v_add3_u32 v4, v4, v18, v5
	v_lshlrev_b64 v[2:3], 2, v[3:4]
	s_delay_alu instid0(VALU_DEP_1) | instskip(NEXT) | instid1(VALU_DEP_2)
	v_add_co_u32 v2, vcc_lo, v11, v2
	v_add_co_ci_u32_e32 v3, vcc_lo, v12, v3, vcc_lo
	global_store_b32 v[2:3], v0, off
	s_branch .LBB69_8
.LBB69_30:
	s_nop 0
	s_sendmsg sendmsg(MSG_DEALLOC_VGPRS)
	s_endpgm
	.section	.rodata,"a",@progbits
	.p2align	6, 0x0
	.amdhsa_kernel _ZN9rocsparseL29bsrmmnt_small_blockdim_kernelILj64ELj8ELj2EiiDF16_DF16_ffEEv20rocsparse_direction_T3_S2_llNS_24const_host_device_scalarIT7_EEPKT2_PKS2_PKT4_PKT5_llS5_PT6_ll16rocsparse_order_21rocsparse_index_base_b
		.amdhsa_group_segment_fixed_size 640
		.amdhsa_private_segment_fixed_size 0
		.amdhsa_kernarg_size 392
		.amdhsa_user_sgpr_count 15
		.amdhsa_user_sgpr_dispatch_ptr 0
		.amdhsa_user_sgpr_queue_ptr 0
		.amdhsa_user_sgpr_kernarg_segment_ptr 1
		.amdhsa_user_sgpr_dispatch_id 0
		.amdhsa_user_sgpr_private_segment_size 0
		.amdhsa_wavefront_size32 1
		.amdhsa_uses_dynamic_stack 0
		.amdhsa_enable_private_segment 0
		.amdhsa_system_sgpr_workgroup_id_x 1
		.amdhsa_system_sgpr_workgroup_id_y 0
		.amdhsa_system_sgpr_workgroup_id_z 0
		.amdhsa_system_sgpr_workgroup_info 0
		.amdhsa_system_vgpr_workitem_id 0
		.amdhsa_next_free_vgpr 37
		.amdhsa_next_free_sgpr 26
		.amdhsa_reserve_vcc 1
		.amdhsa_float_round_mode_32 0
		.amdhsa_float_round_mode_16_64 0
		.amdhsa_float_denorm_mode_32 3
		.amdhsa_float_denorm_mode_16_64 3
		.amdhsa_dx10_clamp 1
		.amdhsa_ieee_mode 1
		.amdhsa_fp16_overflow 0
		.amdhsa_workgroup_processor_mode 1
		.amdhsa_memory_ordered 1
		.amdhsa_forward_progress 0
		.amdhsa_shared_vgpr_count 0
		.amdhsa_exception_fp_ieee_invalid_op 0
		.amdhsa_exception_fp_denorm_src 0
		.amdhsa_exception_fp_ieee_div_zero 0
		.amdhsa_exception_fp_ieee_overflow 0
		.amdhsa_exception_fp_ieee_underflow 0
		.amdhsa_exception_fp_ieee_inexact 0
		.amdhsa_exception_int_div_zero 0
	.end_amdhsa_kernel
	.section	.text._ZN9rocsparseL29bsrmmnt_small_blockdim_kernelILj64ELj8ELj2EiiDF16_DF16_ffEEv20rocsparse_direction_T3_S2_llNS_24const_host_device_scalarIT7_EEPKT2_PKS2_PKT4_PKT5_llS5_PT6_ll16rocsparse_order_21rocsparse_index_base_b,"axG",@progbits,_ZN9rocsparseL29bsrmmnt_small_blockdim_kernelILj64ELj8ELj2EiiDF16_DF16_ffEEv20rocsparse_direction_T3_S2_llNS_24const_host_device_scalarIT7_EEPKT2_PKS2_PKT4_PKT5_llS5_PT6_ll16rocsparse_order_21rocsparse_index_base_b,comdat
.Lfunc_end69:
	.size	_ZN9rocsparseL29bsrmmnt_small_blockdim_kernelILj64ELj8ELj2EiiDF16_DF16_ffEEv20rocsparse_direction_T3_S2_llNS_24const_host_device_scalarIT7_EEPKT2_PKS2_PKT4_PKT5_llS5_PT6_ll16rocsparse_order_21rocsparse_index_base_b, .Lfunc_end69-_ZN9rocsparseL29bsrmmnt_small_blockdim_kernelILj64ELj8ELj2EiiDF16_DF16_ffEEv20rocsparse_direction_T3_S2_llNS_24const_host_device_scalarIT7_EEPKT2_PKS2_PKT4_PKT5_llS5_PT6_ll16rocsparse_order_21rocsparse_index_base_b
                                        ; -- End function
	.section	.AMDGPU.csdata,"",@progbits
; Kernel info:
; codeLenInByte = 1588
; NumSgprs: 28
; NumVgprs: 37
; ScratchSize: 0
; MemoryBound: 0
; FloatMode: 240
; IeeeMode: 1
; LDSByteSize: 640 bytes/workgroup (compile time only)
; SGPRBlocks: 3
; VGPRBlocks: 4
; NumSGPRsForWavesPerEU: 28
; NumVGPRsForWavesPerEU: 37
; Occupancy: 16
; WaveLimiterHint : 0
; COMPUTE_PGM_RSRC2:SCRATCH_EN: 0
; COMPUTE_PGM_RSRC2:USER_SGPR: 15
; COMPUTE_PGM_RSRC2:TRAP_HANDLER: 0
; COMPUTE_PGM_RSRC2:TGID_X_EN: 1
; COMPUTE_PGM_RSRC2:TGID_Y_EN: 0
; COMPUTE_PGM_RSRC2:TGID_Z_EN: 0
; COMPUTE_PGM_RSRC2:TIDIG_COMP_CNT: 0
	.section	.text._ZN9rocsparseL29bsrmmnt_small_blockdim_kernelILj64ELj16ELj2EiiDF16_DF16_ffEEv20rocsparse_direction_T3_S2_llNS_24const_host_device_scalarIT7_EEPKT2_PKS2_PKT4_PKT5_llS5_PT6_ll16rocsparse_order_21rocsparse_index_base_b,"axG",@progbits,_ZN9rocsparseL29bsrmmnt_small_blockdim_kernelILj64ELj16ELj2EiiDF16_DF16_ffEEv20rocsparse_direction_T3_S2_llNS_24const_host_device_scalarIT7_EEPKT2_PKS2_PKT4_PKT5_llS5_PT6_ll16rocsparse_order_21rocsparse_index_base_b,comdat
	.globl	_ZN9rocsparseL29bsrmmnt_small_blockdim_kernelILj64ELj16ELj2EiiDF16_DF16_ffEEv20rocsparse_direction_T3_S2_llNS_24const_host_device_scalarIT7_EEPKT2_PKS2_PKT4_PKT5_llS5_PT6_ll16rocsparse_order_21rocsparse_index_base_b ; -- Begin function _ZN9rocsparseL29bsrmmnt_small_blockdim_kernelILj64ELj16ELj2EiiDF16_DF16_ffEEv20rocsparse_direction_T3_S2_llNS_24const_host_device_scalarIT7_EEPKT2_PKS2_PKT4_PKT5_llS5_PT6_ll16rocsparse_order_21rocsparse_index_base_b
	.p2align	8
	.type	_ZN9rocsparseL29bsrmmnt_small_blockdim_kernelILj64ELj16ELj2EiiDF16_DF16_ffEEv20rocsparse_direction_T3_S2_llNS_24const_host_device_scalarIT7_EEPKT2_PKS2_PKT4_PKT5_llS5_PT6_ll16rocsparse_order_21rocsparse_index_base_b,@function
_ZN9rocsparseL29bsrmmnt_small_blockdim_kernelILj64ELj16ELj2EiiDF16_DF16_ffEEv20rocsparse_direction_T3_S2_llNS_24const_host_device_scalarIT7_EEPKT2_PKS2_PKT4_PKT5_llS5_PT6_ll16rocsparse_order_21rocsparse_index_base_b: ; @_ZN9rocsparseL29bsrmmnt_small_blockdim_kernelILj64ELj16ELj2EiiDF16_DF16_ffEEv20rocsparse_direction_T3_S2_llNS_24const_host_device_scalarIT7_EEPKT2_PKS2_PKT4_PKT5_llS5_PT6_ll16rocsparse_order_21rocsparse_index_base_b
; %bb.0:
	s_clause 0x2
	s_load_b128 s[16:19], s[0:1], 0x78
	s_load_b64 s[2:3], s[0:1], 0x20
	s_load_b64 s[24:25], s[0:1], 0x58
	s_waitcnt lgkmcnt(0)
	s_bitcmp1_b32 s18, 0
	s_cselect_b32 s4, -1, 0
	s_delay_alu instid0(SALU_CYCLE_1)
	s_and_b32 vcc_lo, exec_lo, s4
	s_xor_b32 s4, s4, -1
	s_cbranch_vccnz .LBB70_2
; %bb.1:
	s_load_b32 s2, s[2:3], 0x0
.LBB70_2:
	s_and_not1_b32 vcc_lo, exec_lo, s4
	s_cbranch_vccnz .LBB70_4
; %bb.3:
	s_load_b32 s24, s[24:25], 0x0
.LBB70_4:
	s_waitcnt lgkmcnt(0)
	v_cmp_eq_f32_e64 s3, s2, 0
	v_cmp_eq_f32_e64 s4, s24, 1.0
	s_delay_alu instid0(VALU_DEP_1) | instskip(NEXT) | instid1(SALU_CYCLE_1)
	s_and_b32 s3, s3, s4
	s_and_b32 vcc_lo, exec_lo, s3
	s_cbranch_vccnz .LBB70_30
; %bb.5:
	s_clause 0x1
	s_load_b32 s3, s[0:1], 0x94
	s_load_b128 s[20:23], s[0:1], 0x0
	s_waitcnt lgkmcnt(0)
	s_and_b32 s3, s3, 0xffff
	s_delay_alu instid0(SALU_CYCLE_1) | instskip(SKIP_1) | instid1(VALU_DEP_1)
	v_mad_u64_u32 v[1:2], null, s15, s3, v[0:1]
	s_mov_b32 s3, exec_lo
	v_lshrrev_b32_e32 v2, 5, v1
	s_delay_alu instid0(VALU_DEP_1)
	v_cmpx_gt_i32_e64 s21, v2
	s_cbranch_execz .LBB70_30
; %bb.6:
	s_cmp_lt_i32 s22, 1
	s_cbranch_scc1 .LBB70_30
; %bb.7:
	s_load_b256 s[4:11], s[0:1], 0x28
	v_lshlrev_b32_e32 v2, 2, v2
	s_load_b128 s[12:15], s[0:1], 0x60
	v_lshrrev_b32_e32 v10, 4, v1
	s_cmp_lg_u32 s16, 1
	v_bfe_u32 v17, v1, 4, 1
	s_cselect_b32 s16, -1, 0
	s_cmp_eq_u32 s20, 0
	v_and_b32_e32 v6, 15, v0
	v_lshrrev_b32_e32 v11, 4, v0
	v_lshlrev_b32_e32 v12, 2, v10
	v_cmp_neq_f32_e64 s3, s24, 0
	s_delay_alu instid0(VALU_DEP_3)
	v_lshl_add_u32 v7, v11, 6, 0x180
	s_waitcnt lgkmcnt(0)
	global_load_b64 v[2:3], v2, s[4:5]
	s_load_b64 s[4:5], s[0:1], 0x48
	v_mad_u64_u32 v[4:5], null, v10, s14, 0
	s_cselect_b32 s1, -1, 0
	s_delay_alu instid0(SALU_CYCLE_1) | instskip(SKIP_1) | instid1(VALU_DEP_1)
	v_cndmask_b32_e64 v18, 0, 1, s1
	s_and_b32 s1, s1, exec_lo
	v_dual_mov_b32 v0, v5 :: v_dual_lshlrev_b32 v17, v18, v17
	s_delay_alu instid0(VALU_DEP_1) | instskip(SKIP_1) | instid1(VALU_DEP_2)
	v_mad_u64_u32 v[8:9], null, v10, s15, v[0:1]
	v_mov_b32_e32 v1, 0
	v_mov_b32_e32 v5, v8
	v_mul_u32_u24_e32 v0, 3, v6
	v_mul_u32_u24_e32 v8, 0x60, v11
	v_lshl_or_b32 v9, v6, 2, v7
	s_delay_alu instid0(VALU_DEP_4) | instskip(NEXT) | instid1(VALU_DEP_4)
	v_lshlrev_b64 v[4:5], 2, v[4:5]
	v_lshlrev_b32_e32 v0, 1, v0
	s_delay_alu instid0(VALU_DEP_1) | instskip(SKIP_1) | instid1(VALU_DEP_4)
	v_mad_u32_u24 v10, 0x60, v11, v0
	v_add_co_u32 v11, s0, s12, v12
	v_add_co_u32 v13, vcc_lo, s12, v4
	v_add_co_ci_u32_e64 v12, null, s13, 0, s0
	v_add_co_ci_u32_e32 v14, vcc_lo, s13, v5, vcc_lo
	s_mov_b32 s12, 0
	s_cselect_b32 s13, 1, 2
	s_waitcnt vmcnt(0)
	v_subrev_nc_u32_e32 v15, s17, v2
	v_subrev_nc_u32_e32 v16, s17, v3
	v_cmp_lt_i32_e64 s0, v2, v3
	s_branch .LBB70_9
.LBB70_8:                               ;   in Loop: Header=BB70_9 Depth=1
	s_or_b32 exec_lo, exec_lo, s1
	s_add_i32 s12, s12, 16
	s_delay_alu instid0(SALU_CYCLE_1)
	s_cmp_lt_i32 s12, s22
	s_cbranch_scc0 .LBB70_30
.LBB70_9:                               ; =>This Loop Header: Depth=1
                                        ;     Child Loop BB70_12 Depth 2
                                        ;       Child Loop BB70_16 Depth 3
	v_or_b32_e32 v2, s12, v6
	v_mov_b32_e32 v18, v1
	s_delay_alu instid0(VALU_DEP_2)
	v_ashrrev_i32_e32 v3, 31, v2
	s_and_saveexec_b32 s18, s0
	s_cbranch_execz .LBB70_18
; %bb.10:                               ;   in Loop: Header=BB70_9 Depth=1
	s_delay_alu instid0(VALU_DEP_1) | instskip(SKIP_3) | instid1(VALU_DEP_3)
	v_lshlrev_b64 v[4:5], 1, v[2:3]
	v_cmp_gt_i32_e32 vcc_lo, s22, v2
	v_dual_mov_b32 v18, 0 :: v_dual_mov_b32 v21, v15
	s_mov_b32 s19, 0
	v_add_co_u32 v19, s1, s10, v4
	s_delay_alu instid0(VALU_DEP_1)
	v_add_co_ci_u32_e64 v20, s1, s11, v5, s1
	s_branch .LBB70_12
.LBB70_11:                              ;   in Loop: Header=BB70_12 Depth=2
	s_or_b32 exec_lo, exec_lo, s20
	v_add_nc_u32_e32 v21, 16, v21
	s_delay_alu instid0(VALU_DEP_1) | instskip(NEXT) | instid1(VALU_DEP_1)
	v_cmp_ge_i32_e64 s1, v21, v16
	s_or_b32 s19, s1, s19
	s_delay_alu instid0(SALU_CYCLE_1)
	s_and_not1_b32 exec_lo, exec_lo, s19
	s_cbranch_execz .LBB70_17
.LBB70_12:                              ;   Parent Loop BB70_9 Depth=1
                                        ; =>  This Loop Header: Depth=2
                                        ;       Child Loop BB70_16 Depth 3
	v_add_nc_u32_e32 v4, v21, v6
	v_mov_b32_e32 v0, 0
	v_mov_b32_e32 v22, 0
	s_mov_b32 s20, exec_lo
	s_delay_alu instid0(VALU_DEP_3)
	v_cmpx_lt_i32_e64 v4, v16
	s_cbranch_execz .LBB70_14
; %bb.13:                               ;   in Loop: Header=BB70_12 Depth=2
	v_lshl_or_b32 v0, v4, 2, v17
	v_ashrrev_i32_e32 v5, 31, v4
	s_delay_alu instid0(VALU_DEP_2) | instskip(NEXT) | instid1(VALU_DEP_2)
	v_lshlrev_b64 v[22:23], 1, v[0:1]
	v_lshlrev_b64 v[4:5], 2, v[4:5]
	v_or_b32_e32 v0, s13, v0
	s_delay_alu instid0(VALU_DEP_3) | instskip(NEXT) | instid1(VALU_DEP_1)
	v_add_co_u32 v22, s1, s8, v22
	v_add_co_ci_u32_e64 v23, s1, s9, v23, s1
	s_delay_alu instid0(VALU_DEP_4) | instskip(NEXT) | instid1(VALU_DEP_1)
	v_add_co_u32 v4, s1, s6, v4
	v_add_co_ci_u32_e64 v5, s1, s7, v5, s1
	global_load_u16 v22, v[22:23], off
	v_lshlrev_b64 v[23:24], 1, v[0:1]
	global_load_b32 v0, v[4:5], off
	v_add_co_u32 v4, s1, s8, v23
	s_delay_alu instid0(VALU_DEP_1) | instskip(SKIP_3) | instid1(VALU_DEP_1)
	v_add_co_ci_u32_e64 v5, s1, s9, v24, s1
	global_load_d16_hi_b16 v22, v[4:5], off
	s_waitcnt vmcnt(1)
	v_subrev_nc_u32_e32 v0, s17, v0
	v_lshlrev_b32_e32 v0, 1, v0
.LBB70_14:                              ;   in Loop: Header=BB70_12 Depth=2
	s_or_b32 exec_lo, exec_lo, s20
	ds_store_b32 v9, v0
	s_waitcnt vmcnt(0)
	ds_store_b32 v10, v22
	s_waitcnt lgkmcnt(0)
	s_waitcnt_vscnt null, 0x0
	s_barrier
	buffer_gl0_inv
	s_and_saveexec_b32 s20, vcc_lo
	s_cbranch_execz .LBB70_11
; %bb.15:                               ;   in Loop: Header=BB70_12 Depth=2
	v_mov_b32_e32 v0, v8
	s_mov_b32 s21, 0
.LBB70_16:                              ;   Parent Loop BB70_9 Depth=1
                                        ;     Parent Loop BB70_12 Depth=2
                                        ; =>    This Inner Loop Header: Depth=3
	s_delay_alu instid0(SALU_CYCLE_1) | instskip(SKIP_1) | instid1(SALU_CYCLE_1)
	v_add_nc_u32_e32 v4, s21, v7
	s_add_i32 s21, s21, 8
	s_cmp_lg_u32 s21, 64
	ds_load_b64 v[4:5], v4
	s_waitcnt lgkmcnt(0)
	v_ashrrev_i32_e32 v26, 31, v4
	v_add_nc_u32_e32 v27, 1, v4
	v_mul_lo_u32 v28, v4, s5
	v_mad_u64_u32 v[22:23], null, v4, s4, 0
	v_add_nc_u32_e32 v31, 1, v5
	v_mul_lo_u32 v32, v26, s4
	v_ashrrev_i32_e32 v33, 31, v27
	v_ashrrev_i32_e32 v29, 31, v5
	v_mul_lo_u32 v30, v5, s5
	v_mad_u64_u32 v[24:25], null, v5, s4, 0
	v_mul_lo_u32 v34, v27, s5
	v_mad_u64_u32 v[4:5], null, v27, s4, 0
	v_ashrrev_i32_e32 v35, 31, v31
	v_mul_lo_u32 v36, v31, s5
	v_mad_u64_u32 v[26:27], null, v31, s4, 0
	v_mul_lo_u32 v31, v33, s4
	v_add3_u32 v23, v23, v28, v32
	v_mul_lo_u32 v29, v29, s4
	v_mul_lo_u32 v33, v35, s4
	s_delay_alu instid0(VALU_DEP_3) | instskip(SKIP_1) | instid1(VALU_DEP_4)
	v_lshlrev_b64 v[22:23], 1, v[22:23]
	v_add3_u32 v5, v5, v34, v31
	v_add3_u32 v25, v25, v30, v29
	s_delay_alu instid0(VALU_DEP_4) | instskip(NEXT) | instid1(VALU_DEP_4)
	v_add3_u32 v27, v27, v36, v33
	v_add_co_u32 v22, s1, v19, v22
	s_delay_alu instid0(VALU_DEP_4) | instskip(SKIP_3) | instid1(VALU_DEP_4)
	v_lshlrev_b64 v[4:5], 1, v[4:5]
	v_add_co_ci_u32_e64 v23, s1, v20, v23, s1
	v_lshlrev_b64 v[24:25], 1, v[24:25]
	v_lshlrev_b64 v[26:27], 1, v[26:27]
	v_add_co_u32 v4, s1, v19, v4
	global_load_u16 v28, v[22:23], off
	v_add_co_ci_u32_e64 v5, s1, v20, v5, s1
	v_add_co_u32 v22, s1, v19, v24
	s_delay_alu instid0(VALU_DEP_1) | instskip(SKIP_2) | instid1(VALU_DEP_1)
	v_add_co_ci_u32_e64 v23, s1, v20, v25, s1
	global_load_u16 v24, v[4:5], off
	v_add_co_u32 v4, s1, v19, v26
	v_add_co_ci_u32_e64 v5, s1, v20, v27, s1
	s_clause 0x1
	global_load_u16 v22, v[22:23], off
	global_load_u16 v4, v[4:5], off
	ds_load_b32 v5, v0
	ds_load_u16 v23, v0 offset:6
	ds_load_u16 v25, v0 offset:8
	v_add_nc_u32_e32 v0, 12, v0
	s_waitcnt vmcnt(3) lgkmcnt(2)
	v_fma_mix_f32 v18, v5, v28, v18 op_sel_hi:[1,1,0]
	s_waitcnt vmcnt(2)
	s_delay_alu instid0(VALU_DEP_1) | instskip(SKIP_1) | instid1(VALU_DEP_1)
	v_fma_mix_f32 v5, v5, v24, v18 op_sel:[1,0,0] op_sel_hi:[1,1,0]
	s_waitcnt vmcnt(1) lgkmcnt(1)
	v_fma_mix_f32 v5, v23, v22, v5 op_sel_hi:[1,1,0]
	s_waitcnt vmcnt(0) lgkmcnt(0)
	s_delay_alu instid0(VALU_DEP_1)
	v_fma_mix_f32 v18, v25, v4, v5 op_sel_hi:[1,1,0]
	s_cbranch_scc1 .LBB70_16
	s_branch .LBB70_11
.LBB70_17:                              ;   in Loop: Header=BB70_9 Depth=1
	s_or_b32 exec_lo, exec_lo, s19
.LBB70_18:                              ;   in Loop: Header=BB70_9 Depth=1
	s_delay_alu instid0(SALU_CYCLE_1) | instskip(NEXT) | instid1(SALU_CYCLE_1)
	s_or_b32 exec_lo, exec_lo, s18
	s_mov_b32 s1, exec_lo
	v_cmpx_gt_i32_e64 s22, v2
	s_cbranch_execz .LBB70_8
; %bb.19:                               ;   in Loop: Header=BB70_9 Depth=1
	s_and_b32 vcc_lo, exec_lo, s3
	s_cbranch_vccz .LBB70_25
; %bb.20:                               ;   in Loop: Header=BB70_9 Depth=1
	s_and_b32 vcc_lo, exec_lo, s16
	s_mov_b32 s18, -1
	s_cbranch_vccz .LBB70_22
; %bb.21:                               ;   in Loop: Header=BB70_9 Depth=1
	v_lshlrev_b64 v[4:5], 2, v[2:3]
	v_mul_f32_e32 v19, s2, v18
	s_mov_b32 s18, 0
	s_delay_alu instid0(VALU_DEP_2) | instskip(NEXT) | instid1(VALU_DEP_3)
	v_add_co_u32 v4, vcc_lo, v13, v4
	v_add_co_ci_u32_e32 v5, vcc_lo, v14, v5, vcc_lo
	global_load_b32 v0, v[4:5], off
	s_waitcnt vmcnt(0)
	v_fmac_f32_e32 v19, s24, v0
	global_store_b32 v[4:5], v19, off
.LBB70_22:                              ;   in Loop: Header=BB70_9 Depth=1
	s_and_not1_b32 vcc_lo, exec_lo, s18
	s_cbranch_vccnz .LBB70_24
; %bb.23:                               ;   in Loop: Header=BB70_9 Depth=1
	v_mul_lo_u32 v0, v3, s14
	v_mul_lo_u32 v19, v2, s15
	v_mad_u64_u32 v[4:5], null, v2, s14, 0
	s_delay_alu instid0(VALU_DEP_1) | instskip(SKIP_1) | instid1(VALU_DEP_2)
	v_add3_u32 v5, v5, v19, v0
	v_mul_f32_e32 v19, s2, v18
	v_lshlrev_b64 v[4:5], 2, v[4:5]
	s_delay_alu instid0(VALU_DEP_1) | instskip(NEXT) | instid1(VALU_DEP_2)
	v_add_co_u32 v4, vcc_lo, v11, v4
	v_add_co_ci_u32_e32 v5, vcc_lo, v12, v5, vcc_lo
	global_load_b32 v0, v[4:5], off
	s_waitcnt vmcnt(0)
	v_fmac_f32_e32 v19, s24, v0
	global_store_b32 v[4:5], v19, off
.LBB70_24:                              ;   in Loop: Header=BB70_9 Depth=1
	s_cbranch_execnz .LBB70_8
	s_branch .LBB70_26
.LBB70_25:                              ;   in Loop: Header=BB70_9 Depth=1
.LBB70_26:                              ;   in Loop: Header=BB70_9 Depth=1
	v_mul_f32_e32 v0, s2, v18
	s_and_b32 vcc_lo, exec_lo, s16
	s_mov_b32 s18, -1
	s_cbranch_vccz .LBB70_28
; %bb.27:                               ;   in Loop: Header=BB70_9 Depth=1
	v_lshlrev_b64 v[4:5], 2, v[2:3]
	s_mov_b32 s18, 0
	s_delay_alu instid0(VALU_DEP_1) | instskip(NEXT) | instid1(VALU_DEP_2)
	v_add_co_u32 v4, vcc_lo, v13, v4
	v_add_co_ci_u32_e32 v5, vcc_lo, v14, v5, vcc_lo
	global_store_b32 v[4:5], v0, off
.LBB70_28:                              ;   in Loop: Header=BB70_9 Depth=1
	s_and_not1_b32 vcc_lo, exec_lo, s18
	s_cbranch_vccnz .LBB70_8
; %bb.29:                               ;   in Loop: Header=BB70_9 Depth=1
	v_mul_lo_u32 v5, v3, s14
	v_mul_lo_u32 v18, v2, s15
	v_mad_u64_u32 v[3:4], null, v2, s14, 0
	s_delay_alu instid0(VALU_DEP_1) | instskip(NEXT) | instid1(VALU_DEP_1)
	v_add3_u32 v4, v4, v18, v5
	v_lshlrev_b64 v[2:3], 2, v[3:4]
	s_delay_alu instid0(VALU_DEP_1) | instskip(NEXT) | instid1(VALU_DEP_2)
	v_add_co_u32 v2, vcc_lo, v11, v2
	v_add_co_ci_u32_e32 v3, vcc_lo, v12, v3, vcc_lo
	global_store_b32 v[2:3], v0, off
	s_branch .LBB70_8
.LBB70_30:
	s_nop 0
	s_sendmsg sendmsg(MSG_DEALLOC_VGPRS)
	s_endpgm
	.section	.rodata,"a",@progbits
	.p2align	6, 0x0
	.amdhsa_kernel _ZN9rocsparseL29bsrmmnt_small_blockdim_kernelILj64ELj16ELj2EiiDF16_DF16_ffEEv20rocsparse_direction_T3_S2_llNS_24const_host_device_scalarIT7_EEPKT2_PKS2_PKT4_PKT5_llS5_PT6_ll16rocsparse_order_21rocsparse_index_base_b
		.amdhsa_group_segment_fixed_size 640
		.amdhsa_private_segment_fixed_size 0
		.amdhsa_kernarg_size 392
		.amdhsa_user_sgpr_count 15
		.amdhsa_user_sgpr_dispatch_ptr 0
		.amdhsa_user_sgpr_queue_ptr 0
		.amdhsa_user_sgpr_kernarg_segment_ptr 1
		.amdhsa_user_sgpr_dispatch_id 0
		.amdhsa_user_sgpr_private_segment_size 0
		.amdhsa_wavefront_size32 1
		.amdhsa_uses_dynamic_stack 0
		.amdhsa_enable_private_segment 0
		.amdhsa_system_sgpr_workgroup_id_x 1
		.amdhsa_system_sgpr_workgroup_id_y 0
		.amdhsa_system_sgpr_workgroup_id_z 0
		.amdhsa_system_sgpr_workgroup_info 0
		.amdhsa_system_vgpr_workitem_id 0
		.amdhsa_next_free_vgpr 37
		.amdhsa_next_free_sgpr 26
		.amdhsa_reserve_vcc 1
		.amdhsa_float_round_mode_32 0
		.amdhsa_float_round_mode_16_64 0
		.amdhsa_float_denorm_mode_32 3
		.amdhsa_float_denorm_mode_16_64 3
		.amdhsa_dx10_clamp 1
		.amdhsa_ieee_mode 1
		.amdhsa_fp16_overflow 0
		.amdhsa_workgroup_processor_mode 1
		.amdhsa_memory_ordered 1
		.amdhsa_forward_progress 0
		.amdhsa_shared_vgpr_count 0
		.amdhsa_exception_fp_ieee_invalid_op 0
		.amdhsa_exception_fp_denorm_src 0
		.amdhsa_exception_fp_ieee_div_zero 0
		.amdhsa_exception_fp_ieee_overflow 0
		.amdhsa_exception_fp_ieee_underflow 0
		.amdhsa_exception_fp_ieee_inexact 0
		.amdhsa_exception_int_div_zero 0
	.end_amdhsa_kernel
	.section	.text._ZN9rocsparseL29bsrmmnt_small_blockdim_kernelILj64ELj16ELj2EiiDF16_DF16_ffEEv20rocsparse_direction_T3_S2_llNS_24const_host_device_scalarIT7_EEPKT2_PKS2_PKT4_PKT5_llS5_PT6_ll16rocsparse_order_21rocsparse_index_base_b,"axG",@progbits,_ZN9rocsparseL29bsrmmnt_small_blockdim_kernelILj64ELj16ELj2EiiDF16_DF16_ffEEv20rocsparse_direction_T3_S2_llNS_24const_host_device_scalarIT7_EEPKT2_PKS2_PKT4_PKT5_llS5_PT6_ll16rocsparse_order_21rocsparse_index_base_b,comdat
.Lfunc_end70:
	.size	_ZN9rocsparseL29bsrmmnt_small_blockdim_kernelILj64ELj16ELj2EiiDF16_DF16_ffEEv20rocsparse_direction_T3_S2_llNS_24const_host_device_scalarIT7_EEPKT2_PKS2_PKT4_PKT5_llS5_PT6_ll16rocsparse_order_21rocsparse_index_base_b, .Lfunc_end70-_ZN9rocsparseL29bsrmmnt_small_blockdim_kernelILj64ELj16ELj2EiiDF16_DF16_ffEEv20rocsparse_direction_T3_S2_llNS_24const_host_device_scalarIT7_EEPKT2_PKS2_PKT4_PKT5_llS5_PT6_ll16rocsparse_order_21rocsparse_index_base_b
                                        ; -- End function
	.section	.AMDGPU.csdata,"",@progbits
; Kernel info:
; codeLenInByte = 1596
; NumSgprs: 28
; NumVgprs: 37
; ScratchSize: 0
; MemoryBound: 0
; FloatMode: 240
; IeeeMode: 1
; LDSByteSize: 640 bytes/workgroup (compile time only)
; SGPRBlocks: 3
; VGPRBlocks: 4
; NumSGPRsForWavesPerEU: 28
; NumVGPRsForWavesPerEU: 37
; Occupancy: 16
; WaveLimiterHint : 0
; COMPUTE_PGM_RSRC2:SCRATCH_EN: 0
; COMPUTE_PGM_RSRC2:USER_SGPR: 15
; COMPUTE_PGM_RSRC2:TRAP_HANDLER: 0
; COMPUTE_PGM_RSRC2:TGID_X_EN: 1
; COMPUTE_PGM_RSRC2:TGID_Y_EN: 0
; COMPUTE_PGM_RSRC2:TGID_Z_EN: 0
; COMPUTE_PGM_RSRC2:TIDIG_COMP_CNT: 0
	.section	.text._ZN9rocsparseL29bsrmmnt_small_blockdim_kernelILj64ELj32ELj2EiiDF16_DF16_ffEEv20rocsparse_direction_T3_S2_llNS_24const_host_device_scalarIT7_EEPKT2_PKS2_PKT4_PKT5_llS5_PT6_ll16rocsparse_order_21rocsparse_index_base_b,"axG",@progbits,_ZN9rocsparseL29bsrmmnt_small_blockdim_kernelILj64ELj32ELj2EiiDF16_DF16_ffEEv20rocsparse_direction_T3_S2_llNS_24const_host_device_scalarIT7_EEPKT2_PKS2_PKT4_PKT5_llS5_PT6_ll16rocsparse_order_21rocsparse_index_base_b,comdat
	.globl	_ZN9rocsparseL29bsrmmnt_small_blockdim_kernelILj64ELj32ELj2EiiDF16_DF16_ffEEv20rocsparse_direction_T3_S2_llNS_24const_host_device_scalarIT7_EEPKT2_PKS2_PKT4_PKT5_llS5_PT6_ll16rocsparse_order_21rocsparse_index_base_b ; -- Begin function _ZN9rocsparseL29bsrmmnt_small_blockdim_kernelILj64ELj32ELj2EiiDF16_DF16_ffEEv20rocsparse_direction_T3_S2_llNS_24const_host_device_scalarIT7_EEPKT2_PKS2_PKT4_PKT5_llS5_PT6_ll16rocsparse_order_21rocsparse_index_base_b
	.p2align	8
	.type	_ZN9rocsparseL29bsrmmnt_small_blockdim_kernelILj64ELj32ELj2EiiDF16_DF16_ffEEv20rocsparse_direction_T3_S2_llNS_24const_host_device_scalarIT7_EEPKT2_PKS2_PKT4_PKT5_llS5_PT6_ll16rocsparse_order_21rocsparse_index_base_b,@function
_ZN9rocsparseL29bsrmmnt_small_blockdim_kernelILj64ELj32ELj2EiiDF16_DF16_ffEEv20rocsparse_direction_T3_S2_llNS_24const_host_device_scalarIT7_EEPKT2_PKS2_PKT4_PKT5_llS5_PT6_ll16rocsparse_order_21rocsparse_index_base_b: ; @_ZN9rocsparseL29bsrmmnt_small_blockdim_kernelILj64ELj32ELj2EiiDF16_DF16_ffEEv20rocsparse_direction_T3_S2_llNS_24const_host_device_scalarIT7_EEPKT2_PKS2_PKT4_PKT5_llS5_PT6_ll16rocsparse_order_21rocsparse_index_base_b
; %bb.0:
	s_clause 0x2
	s_load_b128 s[16:19], s[0:1], 0x78
	s_load_b64 s[2:3], s[0:1], 0x20
	s_load_b64 s[24:25], s[0:1], 0x58
	s_waitcnt lgkmcnt(0)
	s_bitcmp1_b32 s18, 0
	s_cselect_b32 s4, -1, 0
	s_delay_alu instid0(SALU_CYCLE_1)
	s_and_b32 vcc_lo, exec_lo, s4
	s_xor_b32 s4, s4, -1
	s_cbranch_vccnz .LBB71_2
; %bb.1:
	s_load_b32 s2, s[2:3], 0x0
.LBB71_2:
	s_and_not1_b32 vcc_lo, exec_lo, s4
	s_cbranch_vccnz .LBB71_4
; %bb.3:
	s_load_b32 s24, s[24:25], 0x0
.LBB71_4:
	s_waitcnt lgkmcnt(0)
	v_cmp_eq_f32_e64 s3, s2, 0
	v_cmp_eq_f32_e64 s4, s24, 1.0
	s_delay_alu instid0(VALU_DEP_1) | instskip(NEXT) | instid1(SALU_CYCLE_1)
	s_and_b32 s3, s3, s4
	s_and_b32 vcc_lo, exec_lo, s3
	s_cbranch_vccnz .LBB71_30
; %bb.5:
	s_clause 0x1
	s_load_b32 s3, s[0:1], 0x94
	s_load_b128 s[20:23], s[0:1], 0x0
	s_waitcnt lgkmcnt(0)
	s_and_b32 s3, s3, 0xffff
	s_delay_alu instid0(SALU_CYCLE_1) | instskip(SKIP_1) | instid1(VALU_DEP_1)
	v_mad_u64_u32 v[1:2], null, s15, s3, v[0:1]
	s_mov_b32 s3, exec_lo
	v_lshrrev_b32_e32 v2, 6, v1
	s_delay_alu instid0(VALU_DEP_1)
	v_cmpx_gt_i32_e64 s21, v2
	s_cbranch_execz .LBB71_30
; %bb.6:
	s_cmp_lt_i32 s22, 1
	s_cbranch_scc1 .LBB71_30
; %bb.7:
	s_load_b256 s[4:11], s[0:1], 0x28
	v_lshlrev_b32_e32 v2, 2, v2
	s_load_b128 s[12:15], s[0:1], 0x60
	v_lshrrev_b32_e32 v10, 5, v1
	s_cmp_lg_u32 s16, 1
	v_bfe_u32 v17, v1, 5, 1
	s_cselect_b32 s16, -1, 0
	s_cmp_eq_u32 s20, 0
	v_and_b32_e32 v6, 31, v0
	v_lshrrev_b32_e32 v11, 5, v0
	v_lshlrev_b32_e32 v12, 2, v10
	v_cmp_neq_f32_e64 s3, s24, 0
	s_delay_alu instid0(VALU_DEP_3)
	v_lshl_add_u32 v7, v11, 7, 0x180
	s_waitcnt lgkmcnt(0)
	global_load_b64 v[2:3], v2, s[4:5]
	s_load_b64 s[4:5], s[0:1], 0x48
	v_mad_u64_u32 v[4:5], null, v10, s14, 0
	s_cselect_b32 s1, -1, 0
	s_delay_alu instid0(SALU_CYCLE_1) | instskip(SKIP_1) | instid1(VALU_DEP_1)
	v_cndmask_b32_e64 v18, 0, 1, s1
	s_and_b32 s1, s1, exec_lo
	v_dual_mov_b32 v0, v5 :: v_dual_lshlrev_b32 v17, v18, v17
	s_delay_alu instid0(VALU_DEP_1) | instskip(SKIP_1) | instid1(VALU_DEP_2)
	v_mad_u64_u32 v[8:9], null, v10, s15, v[0:1]
	v_mov_b32_e32 v1, 0
	v_mov_b32_e32 v5, v8
	v_mul_u32_u24_e32 v0, 3, v6
	v_mul_u32_u24_e32 v8, 0xc0, v11
	v_lshl_or_b32 v9, v6, 2, v7
	s_delay_alu instid0(VALU_DEP_4) | instskip(NEXT) | instid1(VALU_DEP_4)
	v_lshlrev_b64 v[4:5], 2, v[4:5]
	v_lshlrev_b32_e32 v0, 1, v0
	s_delay_alu instid0(VALU_DEP_1) | instskip(SKIP_1) | instid1(VALU_DEP_4)
	v_mad_u32_u24 v10, 0xc0, v11, v0
	v_add_co_u32 v11, s0, s12, v12
	v_add_co_u32 v13, vcc_lo, s12, v4
	v_add_co_ci_u32_e64 v12, null, s13, 0, s0
	v_add_co_ci_u32_e32 v14, vcc_lo, s13, v5, vcc_lo
	s_mov_b32 s12, 0
	s_cselect_b32 s13, 1, 2
	s_waitcnt vmcnt(0)
	v_subrev_nc_u32_e32 v15, s17, v2
	v_subrev_nc_u32_e32 v16, s17, v3
	v_cmp_lt_i32_e64 s0, v2, v3
	s_branch .LBB71_9
.LBB71_8:                               ;   in Loop: Header=BB71_9 Depth=1
	s_or_b32 exec_lo, exec_lo, s1
	s_add_i32 s12, s12, 32
	s_delay_alu instid0(SALU_CYCLE_1)
	s_cmp_lt_i32 s12, s22
	s_cbranch_scc0 .LBB71_30
.LBB71_9:                               ; =>This Loop Header: Depth=1
                                        ;     Child Loop BB71_12 Depth 2
                                        ;       Child Loop BB71_16 Depth 3
	v_or_b32_e32 v2, s12, v6
	v_mov_b32_e32 v18, v1
	s_delay_alu instid0(VALU_DEP_2)
	v_ashrrev_i32_e32 v3, 31, v2
	s_and_saveexec_b32 s18, s0
	s_cbranch_execz .LBB71_18
; %bb.10:                               ;   in Loop: Header=BB71_9 Depth=1
	s_delay_alu instid0(VALU_DEP_1) | instskip(SKIP_3) | instid1(VALU_DEP_3)
	v_lshlrev_b64 v[4:5], 1, v[2:3]
	v_cmp_gt_i32_e32 vcc_lo, s22, v2
	v_dual_mov_b32 v18, 0 :: v_dual_mov_b32 v21, v15
	s_mov_b32 s19, 0
	v_add_co_u32 v19, s1, s10, v4
	s_delay_alu instid0(VALU_DEP_1)
	v_add_co_ci_u32_e64 v20, s1, s11, v5, s1
	s_branch .LBB71_12
.LBB71_11:                              ;   in Loop: Header=BB71_12 Depth=2
	s_or_b32 exec_lo, exec_lo, s20
	v_add_nc_u32_e32 v21, 32, v21
	s_delay_alu instid0(VALU_DEP_1) | instskip(NEXT) | instid1(VALU_DEP_1)
	v_cmp_ge_i32_e64 s1, v21, v16
	s_or_b32 s19, s1, s19
	s_delay_alu instid0(SALU_CYCLE_1)
	s_and_not1_b32 exec_lo, exec_lo, s19
	s_cbranch_execz .LBB71_17
.LBB71_12:                              ;   Parent Loop BB71_9 Depth=1
                                        ; =>  This Loop Header: Depth=2
                                        ;       Child Loop BB71_16 Depth 3
	v_add_nc_u32_e32 v4, v21, v6
	v_mov_b32_e32 v0, 0
	v_mov_b32_e32 v22, 0
	s_mov_b32 s20, exec_lo
	s_delay_alu instid0(VALU_DEP_3)
	v_cmpx_lt_i32_e64 v4, v16
	s_cbranch_execz .LBB71_14
; %bb.13:                               ;   in Loop: Header=BB71_12 Depth=2
	v_lshl_or_b32 v0, v4, 2, v17
	v_ashrrev_i32_e32 v5, 31, v4
	s_delay_alu instid0(VALU_DEP_2) | instskip(NEXT) | instid1(VALU_DEP_2)
	v_lshlrev_b64 v[22:23], 1, v[0:1]
	v_lshlrev_b64 v[4:5], 2, v[4:5]
	v_or_b32_e32 v0, s13, v0
	s_delay_alu instid0(VALU_DEP_3) | instskip(NEXT) | instid1(VALU_DEP_1)
	v_add_co_u32 v22, s1, s8, v22
	v_add_co_ci_u32_e64 v23, s1, s9, v23, s1
	s_delay_alu instid0(VALU_DEP_4) | instskip(NEXT) | instid1(VALU_DEP_1)
	v_add_co_u32 v4, s1, s6, v4
	v_add_co_ci_u32_e64 v5, s1, s7, v5, s1
	global_load_u16 v22, v[22:23], off
	v_lshlrev_b64 v[23:24], 1, v[0:1]
	global_load_b32 v0, v[4:5], off
	v_add_co_u32 v4, s1, s8, v23
	s_delay_alu instid0(VALU_DEP_1) | instskip(SKIP_3) | instid1(VALU_DEP_1)
	v_add_co_ci_u32_e64 v5, s1, s9, v24, s1
	global_load_d16_hi_b16 v22, v[4:5], off
	s_waitcnt vmcnt(1)
	v_subrev_nc_u32_e32 v0, s17, v0
	v_lshlrev_b32_e32 v0, 1, v0
.LBB71_14:                              ;   in Loop: Header=BB71_12 Depth=2
	s_or_b32 exec_lo, exec_lo, s20
	ds_store_b32 v9, v0
	s_waitcnt vmcnt(0)
	ds_store_b32 v10, v22
	s_waitcnt lgkmcnt(0)
	s_waitcnt_vscnt null, 0x0
	s_barrier
	buffer_gl0_inv
	s_and_saveexec_b32 s20, vcc_lo
	s_cbranch_execz .LBB71_11
; %bb.15:                               ;   in Loop: Header=BB71_12 Depth=2
	v_mov_b32_e32 v0, v8
	s_mov_b32 s21, 0
.LBB71_16:                              ;   Parent Loop BB71_9 Depth=1
                                        ;     Parent Loop BB71_12 Depth=2
                                        ; =>    This Inner Loop Header: Depth=3
	s_delay_alu instid0(SALU_CYCLE_1) | instskip(SKIP_1) | instid1(SALU_CYCLE_1)
	v_add_nc_u32_e32 v4, s21, v7
	s_add_i32 s21, s21, 8
	s_cmpk_lg_i32 s21, 0x80
	ds_load_b64 v[4:5], v4
	s_waitcnt lgkmcnt(0)
	v_ashrrev_i32_e32 v26, 31, v4
	v_add_nc_u32_e32 v27, 1, v4
	v_mul_lo_u32 v28, v4, s5
	v_mad_u64_u32 v[22:23], null, v4, s4, 0
	v_add_nc_u32_e32 v31, 1, v5
	v_mul_lo_u32 v32, v26, s4
	v_ashrrev_i32_e32 v33, 31, v27
	v_ashrrev_i32_e32 v29, 31, v5
	v_mul_lo_u32 v30, v5, s5
	v_mad_u64_u32 v[24:25], null, v5, s4, 0
	v_mul_lo_u32 v34, v27, s5
	v_mad_u64_u32 v[4:5], null, v27, s4, 0
	v_ashrrev_i32_e32 v35, 31, v31
	v_mul_lo_u32 v36, v31, s5
	v_mad_u64_u32 v[26:27], null, v31, s4, 0
	v_mul_lo_u32 v31, v33, s4
	v_add3_u32 v23, v23, v28, v32
	v_mul_lo_u32 v29, v29, s4
	v_mul_lo_u32 v33, v35, s4
	s_delay_alu instid0(VALU_DEP_3) | instskip(SKIP_1) | instid1(VALU_DEP_4)
	v_lshlrev_b64 v[22:23], 1, v[22:23]
	v_add3_u32 v5, v5, v34, v31
	v_add3_u32 v25, v25, v30, v29
	s_delay_alu instid0(VALU_DEP_4) | instskip(NEXT) | instid1(VALU_DEP_4)
	v_add3_u32 v27, v27, v36, v33
	v_add_co_u32 v22, s1, v19, v22
	s_delay_alu instid0(VALU_DEP_4) | instskip(SKIP_3) | instid1(VALU_DEP_4)
	v_lshlrev_b64 v[4:5], 1, v[4:5]
	v_add_co_ci_u32_e64 v23, s1, v20, v23, s1
	v_lshlrev_b64 v[24:25], 1, v[24:25]
	v_lshlrev_b64 v[26:27], 1, v[26:27]
	v_add_co_u32 v4, s1, v19, v4
	global_load_u16 v28, v[22:23], off
	v_add_co_ci_u32_e64 v5, s1, v20, v5, s1
	v_add_co_u32 v22, s1, v19, v24
	s_delay_alu instid0(VALU_DEP_1) | instskip(SKIP_2) | instid1(VALU_DEP_1)
	v_add_co_ci_u32_e64 v23, s1, v20, v25, s1
	global_load_u16 v24, v[4:5], off
	v_add_co_u32 v4, s1, v19, v26
	v_add_co_ci_u32_e64 v5, s1, v20, v27, s1
	s_clause 0x1
	global_load_u16 v22, v[22:23], off
	global_load_u16 v4, v[4:5], off
	ds_load_b32 v5, v0
	ds_load_u16 v23, v0 offset:6
	ds_load_u16 v25, v0 offset:8
	v_add_nc_u32_e32 v0, 12, v0
	s_waitcnt vmcnt(3) lgkmcnt(2)
	v_fma_mix_f32 v18, v5, v28, v18 op_sel_hi:[1,1,0]
	s_waitcnt vmcnt(2)
	s_delay_alu instid0(VALU_DEP_1) | instskip(SKIP_1) | instid1(VALU_DEP_1)
	v_fma_mix_f32 v5, v5, v24, v18 op_sel:[1,0,0] op_sel_hi:[1,1,0]
	s_waitcnt vmcnt(1) lgkmcnt(1)
	v_fma_mix_f32 v5, v23, v22, v5 op_sel_hi:[1,1,0]
	s_waitcnt vmcnt(0) lgkmcnt(0)
	s_delay_alu instid0(VALU_DEP_1)
	v_fma_mix_f32 v18, v25, v4, v5 op_sel_hi:[1,1,0]
	s_cbranch_scc1 .LBB71_16
	s_branch .LBB71_11
.LBB71_17:                              ;   in Loop: Header=BB71_9 Depth=1
	s_or_b32 exec_lo, exec_lo, s19
.LBB71_18:                              ;   in Loop: Header=BB71_9 Depth=1
	s_delay_alu instid0(SALU_CYCLE_1) | instskip(NEXT) | instid1(SALU_CYCLE_1)
	s_or_b32 exec_lo, exec_lo, s18
	s_mov_b32 s1, exec_lo
	v_cmpx_gt_i32_e64 s22, v2
	s_cbranch_execz .LBB71_8
; %bb.19:                               ;   in Loop: Header=BB71_9 Depth=1
	s_and_b32 vcc_lo, exec_lo, s3
	s_cbranch_vccz .LBB71_25
; %bb.20:                               ;   in Loop: Header=BB71_9 Depth=1
	s_and_b32 vcc_lo, exec_lo, s16
	s_mov_b32 s18, -1
	s_cbranch_vccz .LBB71_22
; %bb.21:                               ;   in Loop: Header=BB71_9 Depth=1
	v_lshlrev_b64 v[4:5], 2, v[2:3]
	v_mul_f32_e32 v19, s2, v18
	s_mov_b32 s18, 0
	s_delay_alu instid0(VALU_DEP_2) | instskip(NEXT) | instid1(VALU_DEP_3)
	v_add_co_u32 v4, vcc_lo, v13, v4
	v_add_co_ci_u32_e32 v5, vcc_lo, v14, v5, vcc_lo
	global_load_b32 v0, v[4:5], off
	s_waitcnt vmcnt(0)
	v_fmac_f32_e32 v19, s24, v0
	global_store_b32 v[4:5], v19, off
.LBB71_22:                              ;   in Loop: Header=BB71_9 Depth=1
	s_and_not1_b32 vcc_lo, exec_lo, s18
	s_cbranch_vccnz .LBB71_24
; %bb.23:                               ;   in Loop: Header=BB71_9 Depth=1
	v_mul_lo_u32 v0, v3, s14
	v_mul_lo_u32 v19, v2, s15
	v_mad_u64_u32 v[4:5], null, v2, s14, 0
	s_delay_alu instid0(VALU_DEP_1) | instskip(SKIP_1) | instid1(VALU_DEP_2)
	v_add3_u32 v5, v5, v19, v0
	v_mul_f32_e32 v19, s2, v18
	v_lshlrev_b64 v[4:5], 2, v[4:5]
	s_delay_alu instid0(VALU_DEP_1) | instskip(NEXT) | instid1(VALU_DEP_2)
	v_add_co_u32 v4, vcc_lo, v11, v4
	v_add_co_ci_u32_e32 v5, vcc_lo, v12, v5, vcc_lo
	global_load_b32 v0, v[4:5], off
	s_waitcnt vmcnt(0)
	v_fmac_f32_e32 v19, s24, v0
	global_store_b32 v[4:5], v19, off
.LBB71_24:                              ;   in Loop: Header=BB71_9 Depth=1
	s_cbranch_execnz .LBB71_8
	s_branch .LBB71_26
.LBB71_25:                              ;   in Loop: Header=BB71_9 Depth=1
.LBB71_26:                              ;   in Loop: Header=BB71_9 Depth=1
	v_mul_f32_e32 v0, s2, v18
	s_and_b32 vcc_lo, exec_lo, s16
	s_mov_b32 s18, -1
	s_cbranch_vccz .LBB71_28
; %bb.27:                               ;   in Loop: Header=BB71_9 Depth=1
	v_lshlrev_b64 v[4:5], 2, v[2:3]
	s_mov_b32 s18, 0
	s_delay_alu instid0(VALU_DEP_1) | instskip(NEXT) | instid1(VALU_DEP_2)
	v_add_co_u32 v4, vcc_lo, v13, v4
	v_add_co_ci_u32_e32 v5, vcc_lo, v14, v5, vcc_lo
	global_store_b32 v[4:5], v0, off
.LBB71_28:                              ;   in Loop: Header=BB71_9 Depth=1
	s_and_not1_b32 vcc_lo, exec_lo, s18
	s_cbranch_vccnz .LBB71_8
; %bb.29:                               ;   in Loop: Header=BB71_9 Depth=1
	v_mul_lo_u32 v5, v3, s14
	v_mul_lo_u32 v18, v2, s15
	v_mad_u64_u32 v[3:4], null, v2, s14, 0
	s_delay_alu instid0(VALU_DEP_1) | instskip(NEXT) | instid1(VALU_DEP_1)
	v_add3_u32 v4, v4, v18, v5
	v_lshlrev_b64 v[2:3], 2, v[3:4]
	s_delay_alu instid0(VALU_DEP_1) | instskip(NEXT) | instid1(VALU_DEP_2)
	v_add_co_u32 v2, vcc_lo, v11, v2
	v_add_co_ci_u32_e32 v3, vcc_lo, v12, v3, vcc_lo
	global_store_b32 v[2:3], v0, off
	s_branch .LBB71_8
.LBB71_30:
	s_nop 0
	s_sendmsg sendmsg(MSG_DEALLOC_VGPRS)
	s_endpgm
	.section	.rodata,"a",@progbits
	.p2align	6, 0x0
	.amdhsa_kernel _ZN9rocsparseL29bsrmmnt_small_blockdim_kernelILj64ELj32ELj2EiiDF16_DF16_ffEEv20rocsparse_direction_T3_S2_llNS_24const_host_device_scalarIT7_EEPKT2_PKS2_PKT4_PKT5_llS5_PT6_ll16rocsparse_order_21rocsparse_index_base_b
		.amdhsa_group_segment_fixed_size 640
		.amdhsa_private_segment_fixed_size 0
		.amdhsa_kernarg_size 392
		.amdhsa_user_sgpr_count 15
		.amdhsa_user_sgpr_dispatch_ptr 0
		.amdhsa_user_sgpr_queue_ptr 0
		.amdhsa_user_sgpr_kernarg_segment_ptr 1
		.amdhsa_user_sgpr_dispatch_id 0
		.amdhsa_user_sgpr_private_segment_size 0
		.amdhsa_wavefront_size32 1
		.amdhsa_uses_dynamic_stack 0
		.amdhsa_enable_private_segment 0
		.amdhsa_system_sgpr_workgroup_id_x 1
		.amdhsa_system_sgpr_workgroup_id_y 0
		.amdhsa_system_sgpr_workgroup_id_z 0
		.amdhsa_system_sgpr_workgroup_info 0
		.amdhsa_system_vgpr_workitem_id 0
		.amdhsa_next_free_vgpr 37
		.amdhsa_next_free_sgpr 26
		.amdhsa_reserve_vcc 1
		.amdhsa_float_round_mode_32 0
		.amdhsa_float_round_mode_16_64 0
		.amdhsa_float_denorm_mode_32 3
		.amdhsa_float_denorm_mode_16_64 3
		.amdhsa_dx10_clamp 1
		.amdhsa_ieee_mode 1
		.amdhsa_fp16_overflow 0
		.amdhsa_workgroup_processor_mode 1
		.amdhsa_memory_ordered 1
		.amdhsa_forward_progress 0
		.amdhsa_shared_vgpr_count 0
		.amdhsa_exception_fp_ieee_invalid_op 0
		.amdhsa_exception_fp_denorm_src 0
		.amdhsa_exception_fp_ieee_div_zero 0
		.amdhsa_exception_fp_ieee_overflow 0
		.amdhsa_exception_fp_ieee_underflow 0
		.amdhsa_exception_fp_ieee_inexact 0
		.amdhsa_exception_int_div_zero 0
	.end_amdhsa_kernel
	.section	.text._ZN9rocsparseL29bsrmmnt_small_blockdim_kernelILj64ELj32ELj2EiiDF16_DF16_ffEEv20rocsparse_direction_T3_S2_llNS_24const_host_device_scalarIT7_EEPKT2_PKS2_PKT4_PKT5_llS5_PT6_ll16rocsparse_order_21rocsparse_index_base_b,"axG",@progbits,_ZN9rocsparseL29bsrmmnt_small_blockdim_kernelILj64ELj32ELj2EiiDF16_DF16_ffEEv20rocsparse_direction_T3_S2_llNS_24const_host_device_scalarIT7_EEPKT2_PKS2_PKT4_PKT5_llS5_PT6_ll16rocsparse_order_21rocsparse_index_base_b,comdat
.Lfunc_end71:
	.size	_ZN9rocsparseL29bsrmmnt_small_blockdim_kernelILj64ELj32ELj2EiiDF16_DF16_ffEEv20rocsparse_direction_T3_S2_llNS_24const_host_device_scalarIT7_EEPKT2_PKS2_PKT4_PKT5_llS5_PT6_ll16rocsparse_order_21rocsparse_index_base_b, .Lfunc_end71-_ZN9rocsparseL29bsrmmnt_small_blockdim_kernelILj64ELj32ELj2EiiDF16_DF16_ffEEv20rocsparse_direction_T3_S2_llNS_24const_host_device_scalarIT7_EEPKT2_PKS2_PKT4_PKT5_llS5_PT6_ll16rocsparse_order_21rocsparse_index_base_b
                                        ; -- End function
	.section	.AMDGPU.csdata,"",@progbits
; Kernel info:
; codeLenInByte = 1596
; NumSgprs: 28
; NumVgprs: 37
; ScratchSize: 0
; MemoryBound: 0
; FloatMode: 240
; IeeeMode: 1
; LDSByteSize: 640 bytes/workgroup (compile time only)
; SGPRBlocks: 3
; VGPRBlocks: 4
; NumSGPRsForWavesPerEU: 28
; NumVGPRsForWavesPerEU: 37
; Occupancy: 16
; WaveLimiterHint : 0
; COMPUTE_PGM_RSRC2:SCRATCH_EN: 0
; COMPUTE_PGM_RSRC2:USER_SGPR: 15
; COMPUTE_PGM_RSRC2:TRAP_HANDLER: 0
; COMPUTE_PGM_RSRC2:TGID_X_EN: 1
; COMPUTE_PGM_RSRC2:TGID_Y_EN: 0
; COMPUTE_PGM_RSRC2:TGID_Z_EN: 0
; COMPUTE_PGM_RSRC2:TIDIG_COMP_CNT: 0
	.section	.text._ZN9rocsparseL29bsrmmnt_small_blockdim_kernelILj64ELj64ELj2EiiDF16_DF16_ffEEv20rocsparse_direction_T3_S2_llNS_24const_host_device_scalarIT7_EEPKT2_PKS2_PKT4_PKT5_llS5_PT6_ll16rocsparse_order_21rocsparse_index_base_b,"axG",@progbits,_ZN9rocsparseL29bsrmmnt_small_blockdim_kernelILj64ELj64ELj2EiiDF16_DF16_ffEEv20rocsparse_direction_T3_S2_llNS_24const_host_device_scalarIT7_EEPKT2_PKS2_PKT4_PKT5_llS5_PT6_ll16rocsparse_order_21rocsparse_index_base_b,comdat
	.globl	_ZN9rocsparseL29bsrmmnt_small_blockdim_kernelILj64ELj64ELj2EiiDF16_DF16_ffEEv20rocsparse_direction_T3_S2_llNS_24const_host_device_scalarIT7_EEPKT2_PKS2_PKT4_PKT5_llS5_PT6_ll16rocsparse_order_21rocsparse_index_base_b ; -- Begin function _ZN9rocsparseL29bsrmmnt_small_blockdim_kernelILj64ELj64ELj2EiiDF16_DF16_ffEEv20rocsparse_direction_T3_S2_llNS_24const_host_device_scalarIT7_EEPKT2_PKS2_PKT4_PKT5_llS5_PT6_ll16rocsparse_order_21rocsparse_index_base_b
	.p2align	8
	.type	_ZN9rocsparseL29bsrmmnt_small_blockdim_kernelILj64ELj64ELj2EiiDF16_DF16_ffEEv20rocsparse_direction_T3_S2_llNS_24const_host_device_scalarIT7_EEPKT2_PKS2_PKT4_PKT5_llS5_PT6_ll16rocsparse_order_21rocsparse_index_base_b,@function
_ZN9rocsparseL29bsrmmnt_small_blockdim_kernelILj64ELj64ELj2EiiDF16_DF16_ffEEv20rocsparse_direction_T3_S2_llNS_24const_host_device_scalarIT7_EEPKT2_PKS2_PKT4_PKT5_llS5_PT6_ll16rocsparse_order_21rocsparse_index_base_b: ; @_ZN9rocsparseL29bsrmmnt_small_blockdim_kernelILj64ELj64ELj2EiiDF16_DF16_ffEEv20rocsparse_direction_T3_S2_llNS_24const_host_device_scalarIT7_EEPKT2_PKS2_PKT4_PKT5_llS5_PT6_ll16rocsparse_order_21rocsparse_index_base_b
; %bb.0:
	s_clause 0x2
	s_load_b128 s[16:19], s[0:1], 0x78
	s_load_b64 s[2:3], s[0:1], 0x20
	s_load_b64 s[24:25], s[0:1], 0x58
	s_waitcnt lgkmcnt(0)
	s_bitcmp1_b32 s18, 0
	s_cselect_b32 s4, -1, 0
	s_delay_alu instid0(SALU_CYCLE_1)
	s_and_b32 vcc_lo, exec_lo, s4
	s_xor_b32 s4, s4, -1
	s_cbranch_vccnz .LBB72_2
; %bb.1:
	s_load_b32 s2, s[2:3], 0x0
.LBB72_2:
	s_and_not1_b32 vcc_lo, exec_lo, s4
	s_cbranch_vccnz .LBB72_4
; %bb.3:
	s_load_b32 s24, s[24:25], 0x0
.LBB72_4:
	s_waitcnt lgkmcnt(0)
	v_cmp_eq_f32_e64 s3, s2, 0
	v_cmp_eq_f32_e64 s4, s24, 1.0
	s_delay_alu instid0(VALU_DEP_1) | instskip(NEXT) | instid1(SALU_CYCLE_1)
	s_and_b32 s3, s3, s4
	s_and_b32 vcc_lo, exec_lo, s3
	s_cbranch_vccnz .LBB72_30
; %bb.5:
	s_clause 0x1
	s_load_b32 s3, s[0:1], 0x94
	s_load_b128 s[20:23], s[0:1], 0x0
	s_waitcnt lgkmcnt(0)
	s_and_b32 s3, s3, 0xffff
	s_delay_alu instid0(SALU_CYCLE_1) | instskip(SKIP_1) | instid1(VALU_DEP_1)
	v_mad_u64_u32 v[1:2], null, s15, s3, v[0:1]
	s_mov_b32 s3, exec_lo
	v_lshrrev_b32_e32 v2, 7, v1
	s_delay_alu instid0(VALU_DEP_1)
	v_cmpx_gt_i32_e64 s21, v2
	s_cbranch_execz .LBB72_30
; %bb.6:
	s_cmp_lt_i32 s22, 1
	s_cbranch_scc1 .LBB72_30
; %bb.7:
	s_load_b256 s[4:11], s[0:1], 0x28
	v_lshlrev_b32_e32 v2, 2, v2
	s_load_b128 s[12:15], s[0:1], 0x60
	v_lshrrev_b32_e32 v8, 6, v1
	s_cmp_lg_u32 s16, 1
	v_bfe_u32 v1, v1, 6, 1
	s_cselect_b32 s16, -1, 0
	s_cmp_eq_u32 s20, 0
	v_mul_u32_u24_e32 v9, 3, v0
	v_lshlrev_b32_e32 v10, 2, v8
	v_cmp_neq_f32_e64 s3, s24, 0
	s_waitcnt lgkmcnt(0)
	global_load_b64 v[3:4], v2, s[4:5]
	s_load_b64 s[4:5], s[0:1], 0x48
	v_mad_u64_u32 v[5:6], null, v8, s14, 0
	s_cselect_b32 s1, -1, 0
	s_delay_alu instid0(SALU_CYCLE_1) | instskip(SKIP_1) | instid1(VALU_DEP_1)
	v_cndmask_b32_e64 v15, 0, 1, s1
	s_and_b32 s1, s1, exec_lo
	v_dual_mov_b32 v2, v6 :: v_dual_lshlrev_b32 v15, v15, v1
	s_waitcnt vmcnt(0)
	s_delay_alu instid0(VALU_DEP_1)
	v_mad_u64_u32 v[6:7], null, v8, s15, v[2:3]
	v_lshlrev_b32_e32 v8, 1, v9
	v_add_co_u32 v9, s0, s12, v10
	v_lshl_add_u32 v7, v0, 2, 0x180
	v_mov_b32_e32 v2, 0
	v_add_co_ci_u32_e64 v10, null, s13, 0, s0
	v_lshlrev_b64 v[5:6], 2, v[5:6]
	v_subrev_nc_u32_e32 v13, s17, v3
	v_subrev_nc_u32_e32 v14, s17, v4
	v_cmp_lt_i32_e64 s0, v3, v4
	s_delay_alu instid0(VALU_DEP_4)
	v_add_co_u32 v11, vcc_lo, s12, v5
	v_add_co_ci_u32_e32 v12, vcc_lo, s13, v6, vcc_lo
	s_mov_b32 s12, 0
	s_cselect_b32 s13, 1, 2
	s_branch .LBB72_9
.LBB72_8:                               ;   in Loop: Header=BB72_9 Depth=1
	s_or_b32 exec_lo, exec_lo, s1
	s_add_i32 s12, s12, 64
	s_delay_alu instid0(SALU_CYCLE_1)
	s_cmp_lt_i32 s12, s22
	s_cbranch_scc0 .LBB72_30
.LBB72_9:                               ; =>This Loop Header: Depth=1
                                        ;     Child Loop BB72_12 Depth 2
                                        ;       Child Loop BB72_16 Depth 3
	v_or_b32_e32 v3, s12, v0
	v_mov_b32_e32 v16, v2
	s_delay_alu instid0(VALU_DEP_2)
	v_ashrrev_i32_e32 v4, 31, v3
	s_and_saveexec_b32 s18, s0
	s_cbranch_execz .LBB72_18
; %bb.10:                               ;   in Loop: Header=BB72_9 Depth=1
	s_delay_alu instid0(VALU_DEP_1) | instskip(SKIP_3) | instid1(VALU_DEP_3)
	v_lshlrev_b64 v[5:6], 1, v[3:4]
	v_cmp_gt_i32_e32 vcc_lo, s22, v3
	v_dual_mov_b32 v16, 0 :: v_dual_mov_b32 v19, v13
	s_mov_b32 s19, 0
	v_add_co_u32 v17, s1, s10, v5
	s_delay_alu instid0(VALU_DEP_1)
	v_add_co_ci_u32_e64 v18, s1, s11, v6, s1
	s_branch .LBB72_12
.LBB72_11:                              ;   in Loop: Header=BB72_12 Depth=2
	s_or_b32 exec_lo, exec_lo, s20
	v_add_nc_u32_e32 v19, 64, v19
	s_delay_alu instid0(VALU_DEP_1) | instskip(NEXT) | instid1(VALU_DEP_1)
	v_cmp_ge_i32_e64 s1, v19, v14
	s_or_b32 s19, s1, s19
	s_delay_alu instid0(SALU_CYCLE_1)
	s_and_not1_b32 exec_lo, exec_lo, s19
	s_cbranch_execz .LBB72_17
.LBB72_12:                              ;   Parent Loop BB72_9 Depth=1
                                        ; =>  This Loop Header: Depth=2
                                        ;       Child Loop BB72_16 Depth 3
	v_dual_mov_b32 v20, 0 :: v_dual_add_nc_u32 v5, v19, v0
	v_mov_b32_e32 v1, 0
	s_mov_b32 s20, exec_lo
	s_delay_alu instid0(VALU_DEP_2)
	v_cmpx_lt_i32_e64 v5, v14
	s_cbranch_execz .LBB72_14
; %bb.13:                               ;   in Loop: Header=BB72_12 Depth=2
	v_lshl_or_b32 v1, v5, 2, v15
	v_ashrrev_i32_e32 v6, 31, v5
	s_delay_alu instid0(VALU_DEP_2) | instskip(NEXT) | instid1(VALU_DEP_2)
	v_lshlrev_b64 v[20:21], 1, v[1:2]
	v_lshlrev_b64 v[5:6], 2, v[5:6]
	v_or_b32_e32 v1, s13, v1
	s_delay_alu instid0(VALU_DEP_3) | instskip(NEXT) | instid1(VALU_DEP_1)
	v_add_co_u32 v20, s1, s8, v20
	v_add_co_ci_u32_e64 v21, s1, s9, v21, s1
	s_delay_alu instid0(VALU_DEP_4) | instskip(NEXT) | instid1(VALU_DEP_1)
	v_add_co_u32 v5, s1, s6, v5
	v_add_co_ci_u32_e64 v6, s1, s7, v6, s1
	global_load_u16 v20, v[20:21], off
	v_lshlrev_b64 v[21:22], 1, v[1:2]
	global_load_b32 v1, v[5:6], off
	v_add_co_u32 v5, s1, s8, v21
	s_delay_alu instid0(VALU_DEP_1) | instskip(SKIP_3) | instid1(VALU_DEP_1)
	v_add_co_ci_u32_e64 v6, s1, s9, v22, s1
	global_load_d16_hi_b16 v20, v[5:6], off
	s_waitcnt vmcnt(1)
	v_subrev_nc_u32_e32 v1, s17, v1
	v_lshlrev_b32_e32 v1, 1, v1
.LBB72_14:                              ;   in Loop: Header=BB72_12 Depth=2
	s_or_b32 exec_lo, exec_lo, s20
	ds_store_b32 v7, v1
	s_waitcnt vmcnt(0)
	ds_store_b32 v8, v20
	s_waitcnt lgkmcnt(0)
	s_waitcnt_vscnt null, 0x0
	s_barrier
	buffer_gl0_inv
	s_and_saveexec_b32 s20, vcc_lo
	s_cbranch_execz .LBB72_11
; %bb.15:                               ;   in Loop: Header=BB72_12 Depth=2
	v_mov_b32_e32 v1, 0
	s_mov_b32 s21, 0
.LBB72_16:                              ;   Parent Loop BB72_9 Depth=1
                                        ;     Parent Loop BB72_12 Depth=2
                                        ; =>    This Inner Loop Header: Depth=3
	s_delay_alu instid0(SALU_CYCLE_1) | instskip(SKIP_1) | instid1(SALU_CYCLE_1)
	v_add_nc_u32_e64 v5, 0x180, s21
	s_add_i32 s21, s21, 8
	s_cmpk_lg_i32 s21, 0x100
	ds_load_b64 v[5:6], v5
	s_waitcnt lgkmcnt(0)
	v_ashrrev_i32_e32 v24, 31, v5
	v_add_nc_u32_e32 v25, 1, v5
	v_mul_lo_u32 v26, v5, s5
	v_mad_u64_u32 v[20:21], null, v5, s4, 0
	v_add_nc_u32_e32 v29, 1, v6
	v_mul_lo_u32 v30, v24, s4
	v_ashrrev_i32_e32 v31, 31, v25
	v_ashrrev_i32_e32 v27, 31, v6
	v_mul_lo_u32 v28, v6, s5
	v_mad_u64_u32 v[22:23], null, v6, s4, 0
	v_mul_lo_u32 v32, v25, s5
	v_mad_u64_u32 v[5:6], null, v25, s4, 0
	v_ashrrev_i32_e32 v33, 31, v29
	v_mul_lo_u32 v34, v29, s5
	v_mad_u64_u32 v[24:25], null, v29, s4, 0
	v_mul_lo_u32 v29, v31, s4
	v_add3_u32 v21, v21, v26, v30
	v_mul_lo_u32 v27, v27, s4
	v_mul_lo_u32 v31, v33, s4
	s_delay_alu instid0(VALU_DEP_3) | instskip(SKIP_1) | instid1(VALU_DEP_4)
	v_lshlrev_b64 v[20:21], 1, v[20:21]
	v_add3_u32 v6, v6, v32, v29
	v_add3_u32 v23, v23, v28, v27
	s_delay_alu instid0(VALU_DEP_4) | instskip(NEXT) | instid1(VALU_DEP_4)
	v_add3_u32 v25, v25, v34, v31
	v_add_co_u32 v20, s1, v17, v20
	s_delay_alu instid0(VALU_DEP_4) | instskip(SKIP_3) | instid1(VALU_DEP_4)
	v_lshlrev_b64 v[5:6], 1, v[5:6]
	v_add_co_ci_u32_e64 v21, s1, v18, v21, s1
	v_lshlrev_b64 v[22:23], 1, v[22:23]
	v_lshlrev_b64 v[24:25], 1, v[24:25]
	v_add_co_u32 v5, s1, v17, v5
	global_load_u16 v26, v[20:21], off
	v_add_co_ci_u32_e64 v6, s1, v18, v6, s1
	v_add_co_u32 v20, s1, v17, v22
	s_delay_alu instid0(VALU_DEP_1) | instskip(SKIP_2) | instid1(VALU_DEP_1)
	v_add_co_ci_u32_e64 v21, s1, v18, v23, s1
	global_load_u16 v22, v[5:6], off
	v_add_co_u32 v5, s1, v17, v24
	v_add_co_ci_u32_e64 v6, s1, v18, v25, s1
	s_clause 0x1
	global_load_u16 v20, v[20:21], off
	global_load_u16 v5, v[5:6], off
	ds_load_b32 v6, v1
	ds_load_u16 v21, v1 offset:6
	ds_load_u16 v23, v1 offset:8
	v_add_nc_u32_e32 v1, 12, v1
	s_waitcnt vmcnt(3) lgkmcnt(2)
	v_fma_mix_f32 v16, v6, v26, v16 op_sel_hi:[1,1,0]
	s_waitcnt vmcnt(2)
	s_delay_alu instid0(VALU_DEP_1) | instskip(SKIP_1) | instid1(VALU_DEP_1)
	v_fma_mix_f32 v6, v6, v22, v16 op_sel:[1,0,0] op_sel_hi:[1,1,0]
	s_waitcnt vmcnt(1) lgkmcnt(1)
	v_fma_mix_f32 v6, v21, v20, v6 op_sel_hi:[1,1,0]
	s_waitcnt vmcnt(0) lgkmcnt(0)
	s_delay_alu instid0(VALU_DEP_1)
	v_fma_mix_f32 v16, v23, v5, v6 op_sel_hi:[1,1,0]
	s_cbranch_scc1 .LBB72_16
	s_branch .LBB72_11
.LBB72_17:                              ;   in Loop: Header=BB72_9 Depth=1
	s_or_b32 exec_lo, exec_lo, s19
.LBB72_18:                              ;   in Loop: Header=BB72_9 Depth=1
	s_delay_alu instid0(SALU_CYCLE_1) | instskip(NEXT) | instid1(SALU_CYCLE_1)
	s_or_b32 exec_lo, exec_lo, s18
	s_mov_b32 s1, exec_lo
	v_cmpx_gt_i32_e64 s22, v3
	s_cbranch_execz .LBB72_8
; %bb.19:                               ;   in Loop: Header=BB72_9 Depth=1
	s_and_b32 vcc_lo, exec_lo, s3
	s_cbranch_vccz .LBB72_25
; %bb.20:                               ;   in Loop: Header=BB72_9 Depth=1
	s_and_b32 vcc_lo, exec_lo, s16
	s_mov_b32 s18, -1
	s_cbranch_vccz .LBB72_22
; %bb.21:                               ;   in Loop: Header=BB72_9 Depth=1
	v_lshlrev_b64 v[5:6], 2, v[3:4]
	v_mul_f32_e32 v17, s2, v16
	s_mov_b32 s18, 0
	s_delay_alu instid0(VALU_DEP_2) | instskip(NEXT) | instid1(VALU_DEP_3)
	v_add_co_u32 v5, vcc_lo, v11, v5
	v_add_co_ci_u32_e32 v6, vcc_lo, v12, v6, vcc_lo
	global_load_b32 v1, v[5:6], off
	s_waitcnt vmcnt(0)
	v_fmac_f32_e32 v17, s24, v1
	global_store_b32 v[5:6], v17, off
.LBB72_22:                              ;   in Loop: Header=BB72_9 Depth=1
	s_and_not1_b32 vcc_lo, exec_lo, s18
	s_cbranch_vccnz .LBB72_24
; %bb.23:                               ;   in Loop: Header=BB72_9 Depth=1
	v_mul_lo_u32 v1, v4, s14
	v_mul_lo_u32 v17, v3, s15
	v_mad_u64_u32 v[5:6], null, v3, s14, 0
	s_delay_alu instid0(VALU_DEP_1) | instskip(SKIP_1) | instid1(VALU_DEP_2)
	v_add3_u32 v6, v6, v17, v1
	v_mul_f32_e32 v17, s2, v16
	v_lshlrev_b64 v[5:6], 2, v[5:6]
	s_delay_alu instid0(VALU_DEP_1) | instskip(NEXT) | instid1(VALU_DEP_2)
	v_add_co_u32 v5, vcc_lo, v9, v5
	v_add_co_ci_u32_e32 v6, vcc_lo, v10, v6, vcc_lo
	global_load_b32 v1, v[5:6], off
	s_waitcnt vmcnt(0)
	v_fmac_f32_e32 v17, s24, v1
	global_store_b32 v[5:6], v17, off
.LBB72_24:                              ;   in Loop: Header=BB72_9 Depth=1
	s_cbranch_execnz .LBB72_8
	s_branch .LBB72_26
.LBB72_25:                              ;   in Loop: Header=BB72_9 Depth=1
.LBB72_26:                              ;   in Loop: Header=BB72_9 Depth=1
	v_mul_f32_e32 v1, s2, v16
	s_and_b32 vcc_lo, exec_lo, s16
	s_mov_b32 s18, -1
	s_cbranch_vccz .LBB72_28
; %bb.27:                               ;   in Loop: Header=BB72_9 Depth=1
	v_lshlrev_b64 v[5:6], 2, v[3:4]
	s_mov_b32 s18, 0
	s_delay_alu instid0(VALU_DEP_1) | instskip(NEXT) | instid1(VALU_DEP_2)
	v_add_co_u32 v5, vcc_lo, v11, v5
	v_add_co_ci_u32_e32 v6, vcc_lo, v12, v6, vcc_lo
	global_store_b32 v[5:6], v1, off
.LBB72_28:                              ;   in Loop: Header=BB72_9 Depth=1
	s_and_not1_b32 vcc_lo, exec_lo, s18
	s_cbranch_vccnz .LBB72_8
; %bb.29:                               ;   in Loop: Header=BB72_9 Depth=1
	v_mul_lo_u32 v6, v4, s14
	v_mul_lo_u32 v16, v3, s15
	v_mad_u64_u32 v[4:5], null, v3, s14, 0
	s_delay_alu instid0(VALU_DEP_1) | instskip(NEXT) | instid1(VALU_DEP_1)
	v_add3_u32 v5, v5, v16, v6
	v_lshlrev_b64 v[3:4], 2, v[4:5]
	s_delay_alu instid0(VALU_DEP_1) | instskip(NEXT) | instid1(VALU_DEP_2)
	v_add_co_u32 v3, vcc_lo, v9, v3
	v_add_co_ci_u32_e32 v4, vcc_lo, v10, v4, vcc_lo
	global_store_b32 v[3:4], v1, off
	s_branch .LBB72_8
.LBB72_30:
	s_nop 0
	s_sendmsg sendmsg(MSG_DEALLOC_VGPRS)
	s_endpgm
	.section	.rodata,"a",@progbits
	.p2align	6, 0x0
	.amdhsa_kernel _ZN9rocsparseL29bsrmmnt_small_blockdim_kernelILj64ELj64ELj2EiiDF16_DF16_ffEEv20rocsparse_direction_T3_S2_llNS_24const_host_device_scalarIT7_EEPKT2_PKS2_PKT4_PKT5_llS5_PT6_ll16rocsparse_order_21rocsparse_index_base_b
		.amdhsa_group_segment_fixed_size 640
		.amdhsa_private_segment_fixed_size 0
		.amdhsa_kernarg_size 392
		.amdhsa_user_sgpr_count 15
		.amdhsa_user_sgpr_dispatch_ptr 0
		.amdhsa_user_sgpr_queue_ptr 0
		.amdhsa_user_sgpr_kernarg_segment_ptr 1
		.amdhsa_user_sgpr_dispatch_id 0
		.amdhsa_user_sgpr_private_segment_size 0
		.amdhsa_wavefront_size32 1
		.amdhsa_uses_dynamic_stack 0
		.amdhsa_enable_private_segment 0
		.amdhsa_system_sgpr_workgroup_id_x 1
		.amdhsa_system_sgpr_workgroup_id_y 0
		.amdhsa_system_sgpr_workgroup_id_z 0
		.amdhsa_system_sgpr_workgroup_info 0
		.amdhsa_system_vgpr_workitem_id 0
		.amdhsa_next_free_vgpr 35
		.amdhsa_next_free_sgpr 26
		.amdhsa_reserve_vcc 1
		.amdhsa_float_round_mode_32 0
		.amdhsa_float_round_mode_16_64 0
		.amdhsa_float_denorm_mode_32 3
		.amdhsa_float_denorm_mode_16_64 3
		.amdhsa_dx10_clamp 1
		.amdhsa_ieee_mode 1
		.amdhsa_fp16_overflow 0
		.amdhsa_workgroup_processor_mode 1
		.amdhsa_memory_ordered 1
		.amdhsa_forward_progress 0
		.amdhsa_shared_vgpr_count 0
		.amdhsa_exception_fp_ieee_invalid_op 0
		.amdhsa_exception_fp_denorm_src 0
		.amdhsa_exception_fp_ieee_div_zero 0
		.amdhsa_exception_fp_ieee_overflow 0
		.amdhsa_exception_fp_ieee_underflow 0
		.amdhsa_exception_fp_ieee_inexact 0
		.amdhsa_exception_int_div_zero 0
	.end_amdhsa_kernel
	.section	.text._ZN9rocsparseL29bsrmmnt_small_blockdim_kernelILj64ELj64ELj2EiiDF16_DF16_ffEEv20rocsparse_direction_T3_S2_llNS_24const_host_device_scalarIT7_EEPKT2_PKS2_PKT4_PKT5_llS5_PT6_ll16rocsparse_order_21rocsparse_index_base_b,"axG",@progbits,_ZN9rocsparseL29bsrmmnt_small_blockdim_kernelILj64ELj64ELj2EiiDF16_DF16_ffEEv20rocsparse_direction_T3_S2_llNS_24const_host_device_scalarIT7_EEPKT2_PKS2_PKT4_PKT5_llS5_PT6_ll16rocsparse_order_21rocsparse_index_base_b,comdat
.Lfunc_end72:
	.size	_ZN9rocsparseL29bsrmmnt_small_blockdim_kernelILj64ELj64ELj2EiiDF16_DF16_ffEEv20rocsparse_direction_T3_S2_llNS_24const_host_device_scalarIT7_EEPKT2_PKS2_PKT4_PKT5_llS5_PT6_ll16rocsparse_order_21rocsparse_index_base_b, .Lfunc_end72-_ZN9rocsparseL29bsrmmnt_small_blockdim_kernelILj64ELj64ELj2EiiDF16_DF16_ffEEv20rocsparse_direction_T3_S2_llNS_24const_host_device_scalarIT7_EEPKT2_PKS2_PKT4_PKT5_llS5_PT6_ll16rocsparse_order_21rocsparse_index_base_b
                                        ; -- End function
	.section	.AMDGPU.csdata,"",@progbits
; Kernel info:
; codeLenInByte = 1556
; NumSgprs: 28
; NumVgprs: 35
; ScratchSize: 0
; MemoryBound: 0
; FloatMode: 240
; IeeeMode: 1
; LDSByteSize: 640 bytes/workgroup (compile time only)
; SGPRBlocks: 3
; VGPRBlocks: 4
; NumSGPRsForWavesPerEU: 28
; NumVGPRsForWavesPerEU: 35
; Occupancy: 16
; WaveLimiterHint : 0
; COMPUTE_PGM_RSRC2:SCRATCH_EN: 0
; COMPUTE_PGM_RSRC2:USER_SGPR: 15
; COMPUTE_PGM_RSRC2:TRAP_HANDLER: 0
; COMPUTE_PGM_RSRC2:TGID_X_EN: 1
; COMPUTE_PGM_RSRC2:TGID_Y_EN: 0
; COMPUTE_PGM_RSRC2:TGID_Z_EN: 0
; COMPUTE_PGM_RSRC2:TIDIG_COMP_CNT: 0
	.section	.text._ZN9rocsparseL29bsrmmnt_small_blockdim_kernelILj64ELj8ELj2EliDF16_DF16_ffEEv20rocsparse_direction_T3_S2_llNS_24const_host_device_scalarIT7_EEPKT2_PKS2_PKT4_PKT5_llS5_PT6_ll16rocsparse_order_21rocsparse_index_base_b,"axG",@progbits,_ZN9rocsparseL29bsrmmnt_small_blockdim_kernelILj64ELj8ELj2EliDF16_DF16_ffEEv20rocsparse_direction_T3_S2_llNS_24const_host_device_scalarIT7_EEPKT2_PKS2_PKT4_PKT5_llS5_PT6_ll16rocsparse_order_21rocsparse_index_base_b,comdat
	.globl	_ZN9rocsparseL29bsrmmnt_small_blockdim_kernelILj64ELj8ELj2EliDF16_DF16_ffEEv20rocsparse_direction_T3_S2_llNS_24const_host_device_scalarIT7_EEPKT2_PKS2_PKT4_PKT5_llS5_PT6_ll16rocsparse_order_21rocsparse_index_base_b ; -- Begin function _ZN9rocsparseL29bsrmmnt_small_blockdim_kernelILj64ELj8ELj2EliDF16_DF16_ffEEv20rocsparse_direction_T3_S2_llNS_24const_host_device_scalarIT7_EEPKT2_PKS2_PKT4_PKT5_llS5_PT6_ll16rocsparse_order_21rocsparse_index_base_b
	.p2align	8
	.type	_ZN9rocsparseL29bsrmmnt_small_blockdim_kernelILj64ELj8ELj2EliDF16_DF16_ffEEv20rocsparse_direction_T3_S2_llNS_24const_host_device_scalarIT7_EEPKT2_PKS2_PKT4_PKT5_llS5_PT6_ll16rocsparse_order_21rocsparse_index_base_b,@function
_ZN9rocsparseL29bsrmmnt_small_blockdim_kernelILj64ELj8ELj2EliDF16_DF16_ffEEv20rocsparse_direction_T3_S2_llNS_24const_host_device_scalarIT7_EEPKT2_PKS2_PKT4_PKT5_llS5_PT6_ll16rocsparse_order_21rocsparse_index_base_b: ; @_ZN9rocsparseL29bsrmmnt_small_blockdim_kernelILj64ELj8ELj2EliDF16_DF16_ffEEv20rocsparse_direction_T3_S2_llNS_24const_host_device_scalarIT7_EEPKT2_PKS2_PKT4_PKT5_llS5_PT6_ll16rocsparse_order_21rocsparse_index_base_b
; %bb.0:
	s_clause 0x2
	s_load_b128 s[16:19], s[0:1], 0x78
	s_load_b64 s[2:3], s[0:1], 0x20
	s_load_b64 s[24:25], s[0:1], 0x58
	s_waitcnt lgkmcnt(0)
	s_bitcmp1_b32 s18, 0
	s_cselect_b32 s4, -1, 0
	s_delay_alu instid0(SALU_CYCLE_1)
	s_and_b32 vcc_lo, exec_lo, s4
	s_xor_b32 s4, s4, -1
	s_cbranch_vccnz .LBB73_2
; %bb.1:
	s_load_b32 s2, s[2:3], 0x0
.LBB73_2:
	s_and_not1_b32 vcc_lo, exec_lo, s4
	s_cbranch_vccnz .LBB73_4
; %bb.3:
	s_load_b32 s24, s[24:25], 0x0
.LBB73_4:
	s_waitcnt lgkmcnt(0)
	v_cmp_eq_f32_e64 s3, s2, 0
	v_cmp_eq_f32_e64 s4, s24, 1.0
	s_delay_alu instid0(VALU_DEP_1) | instskip(NEXT) | instid1(SALU_CYCLE_1)
	s_and_b32 s3, s3, s4
	s_and_b32 vcc_lo, exec_lo, s3
	s_cbranch_vccnz .LBB73_30
; %bb.5:
	s_clause 0x1
	s_load_b32 s3, s[0:1], 0x94
	s_load_b128 s[20:23], s[0:1], 0x0
	s_waitcnt lgkmcnt(0)
	s_and_b32 s3, s3, 0xffff
	s_delay_alu instid0(SALU_CYCLE_1) | instskip(SKIP_1) | instid1(VALU_DEP_1)
	v_mad_u64_u32 v[1:2], null, s15, s3, v[0:1]
	s_mov_b32 s3, exec_lo
	v_lshrrev_b32_e32 v2, 4, v1
	s_delay_alu instid0(VALU_DEP_1)
	v_cmpx_gt_i32_e64 s21, v2
	s_cbranch_execz .LBB73_30
; %bb.6:
	s_cmp_lt_i32 s22, 1
	s_cbranch_scc1 .LBB73_30
; %bb.7:
	s_load_b256 s[4:11], s[0:1], 0x28
	v_lshlrev_b32_e32 v2, 3, v2
	s_load_b128 s[12:15], s[0:1], 0x60
	v_lshrrev_b32_e32 v13, 3, v1
	v_and_b32_e32 v10, 7, v0
	v_bfe_u32 v19, v1, 3, 1
	s_cmp_lg_u32 s16, 1
	v_cmp_neq_f32_e64 s3, s24, 0
	s_cselect_b32 s16, -1, 0
	s_cmp_eq_u32 s20, 0
	v_lshlrev_b32_e32 v17, 2, v13
	s_waitcnt lgkmcnt(0)
	global_load_b128 v[4:7], v2, s[4:5]
	s_load_b64 s[4:5], s[0:1], 0x48
	v_mad_u64_u32 v[2:3], null, v13, s14, 0
	s_cselect_b32 s1, -1, 0
	s_waitcnt vmcnt(0)
	s_delay_alu instid0(VALU_DEP_1) | instskip(SKIP_3) | instid1(VALU_DEP_3)
	v_mad_u64_u32 v[8:9], null, v13, s15, v[3:4]
	v_lshrrev_b32_e32 v9, 3, v0
	v_mul_u32_u24_e32 v0, 3, v10
	v_cmp_lt_i64_e64 s0, v[4:5], v[6:7]
	v_lshl_add_u32 v11, v9, 5, 0x180
	s_delay_alu instid0(VALU_DEP_3) | instskip(SKIP_2) | instid1(VALU_DEP_4)
	v_dual_mov_b32 v3, v8 :: v_dual_lshlrev_b32 v14, 1, v0
	v_cndmask_b32_e64 v8, 0, 1, s1
	v_mul_u32_u24_e32 v12, 48, v9
	v_lshl_or_b32 v13, v10, 2, v11
	s_delay_alu instid0(VALU_DEP_4) | instskip(SKIP_3) | instid1(VALU_DEP_3)
	v_lshlrev_b64 v[0:1], 2, v[2:3]
	v_mad_u32_u24 v14, v9, 48, v14
	v_lshlrev_b32_e32 v19, v8, v19
	s_and_b32 s1, s1, exec_lo
	v_add_co_u32 v15, vcc_lo, s12, v0
	s_delay_alu instid0(VALU_DEP_4)
	v_add_co_ci_u32_e32 v16, vcc_lo, s13, v1, vcc_lo
	v_sub_co_u32 v0, vcc_lo, v4, s17
	v_subrev_co_ci_u32_e32 v1, vcc_lo, 0, v5, vcc_lo
	v_sub_co_u32 v2, vcc_lo, v6, s17
	v_add_co_u32 v17, s12, s12, v17
	v_subrev_co_ci_u32_e32 v3, vcc_lo, 0, v7, vcc_lo
	v_add_co_ci_u32_e64 v18, null, s13, 0, s12
	s_mov_b32 s12, 0
	s_cselect_b32 s13, 1, 2
	s_branch .LBB73_9
.LBB73_8:                               ;   in Loop: Header=BB73_9 Depth=1
	s_or_b32 exec_lo, exec_lo, s1
	s_add_i32 s12, s12, 8
	s_delay_alu instid0(SALU_CYCLE_1)
	s_cmp_lt_i32 s12, s22
	s_cbranch_scc0 .LBB73_30
.LBB73_9:                               ; =>This Loop Header: Depth=1
                                        ;     Child Loop BB73_12 Depth 2
                                        ;       Child Loop BB73_16 Depth 3
	v_or_b32_e32 v4, s12, v10
	v_mov_b32_e32 v20, 0
	s_delay_alu instid0(VALU_DEP_2)
	v_ashrrev_i32_e32 v5, 31, v4
	s_and_saveexec_b32 s18, s0
	s_cbranch_execz .LBB73_18
; %bb.10:                               ;   in Loop: Header=BB73_9 Depth=1
	s_delay_alu instid0(VALU_DEP_1) | instskip(SKIP_3) | instid1(VALU_DEP_3)
	v_lshlrev_b64 v[6:7], 1, v[4:5]
	v_mov_b32_e32 v20, 0
	v_cmp_gt_i32_e32 vcc_lo, s22, v4
	s_mov_b32 s19, 0
	v_add_co_u32 v21, s1, s10, v6
	s_delay_alu instid0(VALU_DEP_1)
	v_add_co_ci_u32_e64 v22, s1, s11, v7, s1
	v_dual_mov_b32 v7, v1 :: v_dual_mov_b32 v6, v0
	s_branch .LBB73_12
.LBB73_11:                              ;   in Loop: Header=BB73_12 Depth=2
	s_or_b32 exec_lo, exec_lo, s20
	v_add_co_u32 v6, s1, v6, 8
	s_delay_alu instid0(VALU_DEP_1) | instskip(NEXT) | instid1(VALU_DEP_1)
	v_add_co_ci_u32_e64 v7, s1, 0, v7, s1
	v_cmp_ge_i64_e64 s1, v[6:7], v[2:3]
	s_delay_alu instid0(VALU_DEP_1) | instskip(NEXT) | instid1(SALU_CYCLE_1)
	s_or_b32 s19, s1, s19
	s_and_not1_b32 exec_lo, exec_lo, s19
	s_cbranch_execz .LBB73_17
.LBB73_12:                              ;   Parent Loop BB73_9 Depth=1
                                        ; =>  This Loop Header: Depth=2
                                        ;       Child Loop BB73_16 Depth 3
	s_delay_alu instid0(VALU_DEP_1) | instskip(NEXT) | instid1(VALU_DEP_1)
	v_add_co_u32 v8, s1, v6, v10
	v_add_co_ci_u32_e64 v9, s1, 0, v7, s1
	v_dual_mov_b32 v24, 0 :: v_dual_mov_b32 v23, 0
	s_mov_b32 s20, exec_lo
	s_delay_alu instid0(VALU_DEP_2)
	v_cmpx_lt_i64_e64 v[8:9], v[2:3]
	s_cbranch_execz .LBB73_14
; %bb.13:                               ;   in Loop: Header=BB73_12 Depth=2
	v_lshlrev_b64 v[8:9], 2, v[8:9]
	s_delay_alu instid0(VALU_DEP_1) | instskip(NEXT) | instid1(VALU_DEP_2)
	v_or_b32_e32 v25, 0, v9
	v_or_b32_e32 v24, v8, v19
	s_delay_alu instid0(VALU_DEP_1) | instskip(SKIP_2) | instid1(VALU_DEP_3)
	v_lshlrev_b64 v[26:27], 1, v[24:25]
	v_or_b32_e32 v25, 0, v25
	v_or_b32_e32 v24, s13, v24
	v_add_co_u32 v26, s1, s8, v26
	s_delay_alu instid0(VALU_DEP_1) | instskip(SKIP_1) | instid1(VALU_DEP_1)
	v_add_co_ci_u32_e64 v27, s1, s9, v27, s1
	v_add_co_u32 v8, s1, s6, v8
	v_add_co_ci_u32_e64 v9, s1, s7, v9, s1
	global_load_u16 v23, v[26:27], off
	v_lshlrev_b64 v[24:25], 1, v[24:25]
	global_load_b32 v26, v[8:9], off
	v_add_co_u32 v8, s1, s8, v24
	s_delay_alu instid0(VALU_DEP_1) | instskip(SKIP_3) | instid1(VALU_DEP_1)
	v_add_co_ci_u32_e64 v9, s1, s9, v25, s1
	global_load_d16_hi_b16 v23, v[8:9], off
	s_waitcnt vmcnt(1)
	v_subrev_nc_u32_e32 v8, s17, v26
	v_lshlrev_b32_e32 v24, 1, v8
.LBB73_14:                              ;   in Loop: Header=BB73_12 Depth=2
	s_or_b32 exec_lo, exec_lo, s20
	ds_store_b32 v13, v24
	s_waitcnt vmcnt(0)
	ds_store_b32 v14, v23
	s_waitcnt lgkmcnt(0)
	s_waitcnt_vscnt null, 0x0
	s_barrier
	buffer_gl0_inv
	s_and_saveexec_b32 s20, vcc_lo
	s_cbranch_execz .LBB73_11
; %bb.15:                               ;   in Loop: Header=BB73_12 Depth=2
	v_mov_b32_e32 v8, v12
	s_mov_b32 s21, 0
.LBB73_16:                              ;   Parent Loop BB73_9 Depth=1
                                        ;     Parent Loop BB73_12 Depth=2
                                        ; =>    This Inner Loop Header: Depth=3
	s_delay_alu instid0(SALU_CYCLE_1) | instskip(SKIP_1) | instid1(SALU_CYCLE_1)
	v_add_nc_u32_e32 v9, s21, v11
	s_add_i32 s21, s21, 8
	s_cmp_lg_u32 s21, 32
	ds_load_b64 v[23:24], v9
	s_waitcnt lgkmcnt(0)
	v_ashrrev_i32_e32 v9, 31, v23
	v_add_nc_u32_e32 v29, 1, v23
	v_mul_lo_u32 v31, v23, s5
	v_mad_u64_u32 v[25:26], null, v23, s4, 0
	v_ashrrev_i32_e32 v30, 31, v24
	v_add_nc_u32_e32 v33, 1, v24
	v_mul_lo_u32 v9, v9, s4
	v_ashrrev_i32_e32 v34, 31, v29
	v_mul_lo_u32 v32, v24, s5
	v_mad_u64_u32 v[27:28], null, v24, s4, 0
	v_mul_lo_u32 v35, v29, s5
	v_mad_u64_u32 v[23:24], null, v29, s4, 0
	v_mul_lo_u32 v36, v30, s4
	v_ashrrev_i32_e32 v37, 31, v33
	v_mul_lo_u32 v38, v33, s5
	v_mad_u64_u32 v[29:30], null, v33, s4, 0
	v_mul_lo_u32 v33, v34, s4
	v_add3_u32 v26, v26, v31, v9
	v_mul_lo_u32 v34, v37, s4
	v_add3_u32 v28, v28, v32, v36
	s_delay_alu instid0(VALU_DEP_3) | instskip(SKIP_1) | instid1(VALU_DEP_3)
	v_lshlrev_b64 v[25:26], 1, v[25:26]
	v_add3_u32 v24, v24, v35, v33
	v_lshlrev_b64 v[27:28], 1, v[27:28]
	v_add3_u32 v30, v30, v38, v34
	s_delay_alu instid0(VALU_DEP_4) | instskip(NEXT) | instid1(VALU_DEP_4)
	v_add_co_u32 v25, s1, v21, v25
	v_lshlrev_b64 v[23:24], 1, v[23:24]
	v_add_co_ci_u32_e64 v26, s1, v22, v26, s1
	s_delay_alu instid0(VALU_DEP_4) | instskip(NEXT) | instid1(VALU_DEP_3)
	v_lshlrev_b64 v[29:30], 1, v[29:30]
	v_add_co_u32 v23, s1, v21, v23
	global_load_u16 v9, v[25:26], off
	v_add_co_ci_u32_e64 v24, s1, v22, v24, s1
	v_add_co_u32 v25, s1, v21, v27
	s_delay_alu instid0(VALU_DEP_1) | instskip(SKIP_2) | instid1(VALU_DEP_1)
	v_add_co_ci_u32_e64 v26, s1, v22, v28, s1
	global_load_u16 v27, v[23:24], off
	v_add_co_u32 v23, s1, v21, v29
	v_add_co_ci_u32_e64 v24, s1, v22, v30, s1
	s_clause 0x1
	global_load_u16 v25, v[25:26], off
	global_load_u16 v23, v[23:24], off
	ds_load_b32 v24, v8
	ds_load_u16 v26, v8 offset:6
	ds_load_u16 v28, v8 offset:8
	v_add_nc_u32_e32 v8, 12, v8
	s_waitcnt vmcnt(3) lgkmcnt(2)
	v_fma_mix_f32 v9, v24, v9, v20 op_sel_hi:[1,1,0]
	s_waitcnt vmcnt(2)
	s_delay_alu instid0(VALU_DEP_1) | instskip(SKIP_1) | instid1(VALU_DEP_1)
	v_fma_mix_f32 v9, v24, v27, v9 op_sel:[1,0,0] op_sel_hi:[1,1,0]
	s_waitcnt vmcnt(1) lgkmcnt(1)
	v_fma_mix_f32 v9, v26, v25, v9 op_sel_hi:[1,1,0]
	s_waitcnt vmcnt(0) lgkmcnt(0)
	s_delay_alu instid0(VALU_DEP_1)
	v_fma_mix_f32 v20, v28, v23, v9 op_sel_hi:[1,1,0]
	s_cbranch_scc1 .LBB73_16
	s_branch .LBB73_11
.LBB73_17:                              ;   in Loop: Header=BB73_9 Depth=1
	s_or_b32 exec_lo, exec_lo, s19
.LBB73_18:                              ;   in Loop: Header=BB73_9 Depth=1
	s_delay_alu instid0(SALU_CYCLE_1) | instskip(NEXT) | instid1(SALU_CYCLE_1)
	s_or_b32 exec_lo, exec_lo, s18
	s_mov_b32 s1, exec_lo
	v_cmpx_gt_i32_e64 s22, v4
	s_cbranch_execz .LBB73_8
; %bb.19:                               ;   in Loop: Header=BB73_9 Depth=1
	s_and_b32 vcc_lo, exec_lo, s3
	s_cbranch_vccz .LBB73_25
; %bb.20:                               ;   in Loop: Header=BB73_9 Depth=1
	s_and_b32 vcc_lo, exec_lo, s16
	s_mov_b32 s18, -1
	s_cbranch_vccz .LBB73_22
; %bb.21:                               ;   in Loop: Header=BB73_9 Depth=1
	v_lshlrev_b64 v[6:7], 2, v[4:5]
	v_mul_f32_e32 v9, s2, v20
	s_mov_b32 s18, 0
	s_delay_alu instid0(VALU_DEP_2) | instskip(NEXT) | instid1(VALU_DEP_3)
	v_add_co_u32 v6, vcc_lo, v15, v6
	v_add_co_ci_u32_e32 v7, vcc_lo, v16, v7, vcc_lo
	global_load_b32 v8, v[6:7], off
	s_waitcnt vmcnt(0)
	v_fmac_f32_e32 v9, s24, v8
	global_store_b32 v[6:7], v9, off
.LBB73_22:                              ;   in Loop: Header=BB73_9 Depth=1
	s_and_not1_b32 vcc_lo, exec_lo, s18
	s_cbranch_vccnz .LBB73_24
; %bb.23:                               ;   in Loop: Header=BB73_9 Depth=1
	v_mul_lo_u32 v8, v5, s14
	v_mul_lo_u32 v9, v4, s15
	v_mad_u64_u32 v[6:7], null, v4, s14, 0
	s_delay_alu instid0(VALU_DEP_1) | instskip(SKIP_1) | instid1(VALU_DEP_2)
	v_add3_u32 v7, v7, v9, v8
	v_mul_f32_e32 v9, s2, v20
	v_lshlrev_b64 v[6:7], 2, v[6:7]
	s_delay_alu instid0(VALU_DEP_1) | instskip(NEXT) | instid1(VALU_DEP_2)
	v_add_co_u32 v6, vcc_lo, v17, v6
	v_add_co_ci_u32_e32 v7, vcc_lo, v18, v7, vcc_lo
	global_load_b32 v8, v[6:7], off
	s_waitcnt vmcnt(0)
	v_fmac_f32_e32 v9, s24, v8
	global_store_b32 v[6:7], v9, off
.LBB73_24:                              ;   in Loop: Header=BB73_9 Depth=1
	s_cbranch_execnz .LBB73_8
	s_branch .LBB73_26
.LBB73_25:                              ;   in Loop: Header=BB73_9 Depth=1
.LBB73_26:                              ;   in Loop: Header=BB73_9 Depth=1
	v_mul_f32_e32 v6, s2, v20
	s_and_b32 vcc_lo, exec_lo, s16
	s_mov_b32 s18, -1
	s_cbranch_vccz .LBB73_28
; %bb.27:                               ;   in Loop: Header=BB73_9 Depth=1
	v_lshlrev_b64 v[7:8], 2, v[4:5]
	s_mov_b32 s18, 0
	s_delay_alu instid0(VALU_DEP_1) | instskip(NEXT) | instid1(VALU_DEP_2)
	v_add_co_u32 v7, vcc_lo, v15, v7
	v_add_co_ci_u32_e32 v8, vcc_lo, v16, v8, vcc_lo
	global_store_b32 v[7:8], v6, off
.LBB73_28:                              ;   in Loop: Header=BB73_9 Depth=1
	s_and_not1_b32 vcc_lo, exec_lo, s18
	s_cbranch_vccnz .LBB73_8
; %bb.29:                               ;   in Loop: Header=BB73_9 Depth=1
	v_mul_lo_u32 v5, v5, s14
	v_mul_lo_u32 v9, v4, s15
	v_mad_u64_u32 v[7:8], null, v4, s14, 0
	s_delay_alu instid0(VALU_DEP_1) | instskip(NEXT) | instid1(VALU_DEP_1)
	v_add3_u32 v8, v8, v9, v5
	v_lshlrev_b64 v[4:5], 2, v[7:8]
	s_delay_alu instid0(VALU_DEP_1) | instskip(NEXT) | instid1(VALU_DEP_2)
	v_add_co_u32 v4, vcc_lo, v17, v4
	v_add_co_ci_u32_e32 v5, vcc_lo, v18, v5, vcc_lo
	global_store_b32 v[4:5], v6, off
	s_branch .LBB73_8
.LBB73_30:
	s_nop 0
	s_sendmsg sendmsg(MSG_DEALLOC_VGPRS)
	s_endpgm
	.section	.rodata,"a",@progbits
	.p2align	6, 0x0
	.amdhsa_kernel _ZN9rocsparseL29bsrmmnt_small_blockdim_kernelILj64ELj8ELj2EliDF16_DF16_ffEEv20rocsparse_direction_T3_S2_llNS_24const_host_device_scalarIT7_EEPKT2_PKS2_PKT4_PKT5_llS5_PT6_ll16rocsparse_order_21rocsparse_index_base_b
		.amdhsa_group_segment_fixed_size 640
		.amdhsa_private_segment_fixed_size 0
		.amdhsa_kernarg_size 392
		.amdhsa_user_sgpr_count 15
		.amdhsa_user_sgpr_dispatch_ptr 0
		.amdhsa_user_sgpr_queue_ptr 0
		.amdhsa_user_sgpr_kernarg_segment_ptr 1
		.amdhsa_user_sgpr_dispatch_id 0
		.amdhsa_user_sgpr_private_segment_size 0
		.amdhsa_wavefront_size32 1
		.amdhsa_uses_dynamic_stack 0
		.amdhsa_enable_private_segment 0
		.amdhsa_system_sgpr_workgroup_id_x 1
		.amdhsa_system_sgpr_workgroup_id_y 0
		.amdhsa_system_sgpr_workgroup_id_z 0
		.amdhsa_system_sgpr_workgroup_info 0
		.amdhsa_system_vgpr_workitem_id 0
		.amdhsa_next_free_vgpr 39
		.amdhsa_next_free_sgpr 26
		.amdhsa_reserve_vcc 1
		.amdhsa_float_round_mode_32 0
		.amdhsa_float_round_mode_16_64 0
		.amdhsa_float_denorm_mode_32 3
		.amdhsa_float_denorm_mode_16_64 3
		.amdhsa_dx10_clamp 1
		.amdhsa_ieee_mode 1
		.amdhsa_fp16_overflow 0
		.amdhsa_workgroup_processor_mode 1
		.amdhsa_memory_ordered 1
		.amdhsa_forward_progress 0
		.amdhsa_shared_vgpr_count 0
		.amdhsa_exception_fp_ieee_invalid_op 0
		.amdhsa_exception_fp_denorm_src 0
		.amdhsa_exception_fp_ieee_div_zero 0
		.amdhsa_exception_fp_ieee_overflow 0
		.amdhsa_exception_fp_ieee_underflow 0
		.amdhsa_exception_fp_ieee_inexact 0
		.amdhsa_exception_int_div_zero 0
	.end_amdhsa_kernel
	.section	.text._ZN9rocsparseL29bsrmmnt_small_blockdim_kernelILj64ELj8ELj2EliDF16_DF16_ffEEv20rocsparse_direction_T3_S2_llNS_24const_host_device_scalarIT7_EEPKT2_PKS2_PKT4_PKT5_llS5_PT6_ll16rocsparse_order_21rocsparse_index_base_b,"axG",@progbits,_ZN9rocsparseL29bsrmmnt_small_blockdim_kernelILj64ELj8ELj2EliDF16_DF16_ffEEv20rocsparse_direction_T3_S2_llNS_24const_host_device_scalarIT7_EEPKT2_PKS2_PKT4_PKT5_llS5_PT6_ll16rocsparse_order_21rocsparse_index_base_b,comdat
.Lfunc_end73:
	.size	_ZN9rocsparseL29bsrmmnt_small_blockdim_kernelILj64ELj8ELj2EliDF16_DF16_ffEEv20rocsparse_direction_T3_S2_llNS_24const_host_device_scalarIT7_EEPKT2_PKS2_PKT4_PKT5_llS5_PT6_ll16rocsparse_order_21rocsparse_index_base_b, .Lfunc_end73-_ZN9rocsparseL29bsrmmnt_small_blockdim_kernelILj64ELj8ELj2EliDF16_DF16_ffEEv20rocsparse_direction_T3_S2_llNS_24const_host_device_scalarIT7_EEPKT2_PKS2_PKT4_PKT5_llS5_PT6_ll16rocsparse_order_21rocsparse_index_base_b
                                        ; -- End function
	.section	.AMDGPU.csdata,"",@progbits
; Kernel info:
; codeLenInByte = 1624
; NumSgprs: 28
; NumVgprs: 39
; ScratchSize: 0
; MemoryBound: 0
; FloatMode: 240
; IeeeMode: 1
; LDSByteSize: 640 bytes/workgroup (compile time only)
; SGPRBlocks: 3
; VGPRBlocks: 4
; NumSGPRsForWavesPerEU: 28
; NumVGPRsForWavesPerEU: 39
; Occupancy: 16
; WaveLimiterHint : 0
; COMPUTE_PGM_RSRC2:SCRATCH_EN: 0
; COMPUTE_PGM_RSRC2:USER_SGPR: 15
; COMPUTE_PGM_RSRC2:TRAP_HANDLER: 0
; COMPUTE_PGM_RSRC2:TGID_X_EN: 1
; COMPUTE_PGM_RSRC2:TGID_Y_EN: 0
; COMPUTE_PGM_RSRC2:TGID_Z_EN: 0
; COMPUTE_PGM_RSRC2:TIDIG_COMP_CNT: 0
	.section	.text._ZN9rocsparseL29bsrmmnt_small_blockdim_kernelILj64ELj16ELj2EliDF16_DF16_ffEEv20rocsparse_direction_T3_S2_llNS_24const_host_device_scalarIT7_EEPKT2_PKS2_PKT4_PKT5_llS5_PT6_ll16rocsparse_order_21rocsparse_index_base_b,"axG",@progbits,_ZN9rocsparseL29bsrmmnt_small_blockdim_kernelILj64ELj16ELj2EliDF16_DF16_ffEEv20rocsparse_direction_T3_S2_llNS_24const_host_device_scalarIT7_EEPKT2_PKS2_PKT4_PKT5_llS5_PT6_ll16rocsparse_order_21rocsparse_index_base_b,comdat
	.globl	_ZN9rocsparseL29bsrmmnt_small_blockdim_kernelILj64ELj16ELj2EliDF16_DF16_ffEEv20rocsparse_direction_T3_S2_llNS_24const_host_device_scalarIT7_EEPKT2_PKS2_PKT4_PKT5_llS5_PT6_ll16rocsparse_order_21rocsparse_index_base_b ; -- Begin function _ZN9rocsparseL29bsrmmnt_small_blockdim_kernelILj64ELj16ELj2EliDF16_DF16_ffEEv20rocsparse_direction_T3_S2_llNS_24const_host_device_scalarIT7_EEPKT2_PKS2_PKT4_PKT5_llS5_PT6_ll16rocsparse_order_21rocsparse_index_base_b
	.p2align	8
	.type	_ZN9rocsparseL29bsrmmnt_small_blockdim_kernelILj64ELj16ELj2EliDF16_DF16_ffEEv20rocsparse_direction_T3_S2_llNS_24const_host_device_scalarIT7_EEPKT2_PKS2_PKT4_PKT5_llS5_PT6_ll16rocsparse_order_21rocsparse_index_base_b,@function
_ZN9rocsparseL29bsrmmnt_small_blockdim_kernelILj64ELj16ELj2EliDF16_DF16_ffEEv20rocsparse_direction_T3_S2_llNS_24const_host_device_scalarIT7_EEPKT2_PKS2_PKT4_PKT5_llS5_PT6_ll16rocsparse_order_21rocsparse_index_base_b: ; @_ZN9rocsparseL29bsrmmnt_small_blockdim_kernelILj64ELj16ELj2EliDF16_DF16_ffEEv20rocsparse_direction_T3_S2_llNS_24const_host_device_scalarIT7_EEPKT2_PKS2_PKT4_PKT5_llS5_PT6_ll16rocsparse_order_21rocsparse_index_base_b
; %bb.0:
	s_clause 0x2
	s_load_b128 s[16:19], s[0:1], 0x78
	s_load_b64 s[2:3], s[0:1], 0x20
	s_load_b64 s[24:25], s[0:1], 0x58
	s_waitcnt lgkmcnt(0)
	s_bitcmp1_b32 s18, 0
	s_cselect_b32 s4, -1, 0
	s_delay_alu instid0(SALU_CYCLE_1)
	s_and_b32 vcc_lo, exec_lo, s4
	s_xor_b32 s4, s4, -1
	s_cbranch_vccnz .LBB74_2
; %bb.1:
	s_load_b32 s2, s[2:3], 0x0
.LBB74_2:
	s_and_not1_b32 vcc_lo, exec_lo, s4
	s_cbranch_vccnz .LBB74_4
; %bb.3:
	s_load_b32 s24, s[24:25], 0x0
.LBB74_4:
	s_waitcnt lgkmcnt(0)
	v_cmp_eq_f32_e64 s3, s2, 0
	v_cmp_eq_f32_e64 s4, s24, 1.0
	s_delay_alu instid0(VALU_DEP_1) | instskip(NEXT) | instid1(SALU_CYCLE_1)
	s_and_b32 s3, s3, s4
	s_and_b32 vcc_lo, exec_lo, s3
	s_cbranch_vccnz .LBB74_30
; %bb.5:
	s_clause 0x1
	s_load_b32 s3, s[0:1], 0x94
	s_load_b128 s[20:23], s[0:1], 0x0
	s_waitcnt lgkmcnt(0)
	s_and_b32 s3, s3, 0xffff
	s_delay_alu instid0(SALU_CYCLE_1) | instskip(SKIP_1) | instid1(VALU_DEP_1)
	v_mad_u64_u32 v[1:2], null, s15, s3, v[0:1]
	s_mov_b32 s3, exec_lo
	v_lshrrev_b32_e32 v2, 5, v1
	s_delay_alu instid0(VALU_DEP_1)
	v_cmpx_gt_i32_e64 s21, v2
	s_cbranch_execz .LBB74_30
; %bb.6:
	s_cmp_lt_i32 s22, 1
	s_cbranch_scc1 .LBB74_30
; %bb.7:
	s_load_b256 s[4:11], s[0:1], 0x28
	v_lshlrev_b32_e32 v2, 3, v2
	s_load_b128 s[12:15], s[0:1], 0x60
	v_lshrrev_b32_e32 v13, 4, v1
	v_and_b32_e32 v10, 15, v0
	v_bfe_u32 v19, v1, 4, 1
	s_cmp_lg_u32 s16, 1
	v_cmp_neq_f32_e64 s3, s24, 0
	s_cselect_b32 s16, -1, 0
	s_cmp_eq_u32 s20, 0
	v_lshlrev_b32_e32 v17, 2, v13
	s_waitcnt lgkmcnt(0)
	global_load_b128 v[4:7], v2, s[4:5]
	s_load_b64 s[4:5], s[0:1], 0x48
	v_mad_u64_u32 v[2:3], null, v13, s14, 0
	s_cselect_b32 s1, -1, 0
	s_waitcnt vmcnt(0)
	s_delay_alu instid0(VALU_DEP_1) | instskip(SKIP_3) | instid1(VALU_DEP_3)
	v_mad_u64_u32 v[8:9], null, v13, s15, v[3:4]
	v_lshrrev_b32_e32 v9, 4, v0
	v_mul_u32_u24_e32 v0, 3, v10
	v_cmp_lt_i64_e64 s0, v[4:5], v[6:7]
	v_lshl_add_u32 v11, v9, 6, 0x180
	s_delay_alu instid0(VALU_DEP_3) | instskip(SKIP_2) | instid1(VALU_DEP_4)
	v_dual_mov_b32 v3, v8 :: v_dual_lshlrev_b32 v14, 1, v0
	v_cndmask_b32_e64 v8, 0, 1, s1
	v_mul_u32_u24_e32 v12, 0x60, v9
	v_lshl_or_b32 v13, v10, 2, v11
	s_delay_alu instid0(VALU_DEP_4) | instskip(SKIP_3) | instid1(VALU_DEP_3)
	v_lshlrev_b64 v[0:1], 2, v[2:3]
	v_mad_u32_u24 v14, 0x60, v9, v14
	v_lshlrev_b32_e32 v19, v8, v19
	s_and_b32 s1, s1, exec_lo
	v_add_co_u32 v15, vcc_lo, s12, v0
	s_delay_alu instid0(VALU_DEP_4)
	v_add_co_ci_u32_e32 v16, vcc_lo, s13, v1, vcc_lo
	v_sub_co_u32 v0, vcc_lo, v4, s17
	v_subrev_co_ci_u32_e32 v1, vcc_lo, 0, v5, vcc_lo
	v_sub_co_u32 v2, vcc_lo, v6, s17
	v_add_co_u32 v17, s12, s12, v17
	v_subrev_co_ci_u32_e32 v3, vcc_lo, 0, v7, vcc_lo
	v_add_co_ci_u32_e64 v18, null, s13, 0, s12
	s_mov_b32 s12, 0
	s_cselect_b32 s13, 1, 2
	s_branch .LBB74_9
.LBB74_8:                               ;   in Loop: Header=BB74_9 Depth=1
	s_or_b32 exec_lo, exec_lo, s1
	s_add_i32 s12, s12, 16
	s_delay_alu instid0(SALU_CYCLE_1)
	s_cmp_lt_i32 s12, s22
	s_cbranch_scc0 .LBB74_30
.LBB74_9:                               ; =>This Loop Header: Depth=1
                                        ;     Child Loop BB74_12 Depth 2
                                        ;       Child Loop BB74_16 Depth 3
	v_or_b32_e32 v4, s12, v10
	v_mov_b32_e32 v20, 0
	s_delay_alu instid0(VALU_DEP_2)
	v_ashrrev_i32_e32 v5, 31, v4
	s_and_saveexec_b32 s18, s0
	s_cbranch_execz .LBB74_18
; %bb.10:                               ;   in Loop: Header=BB74_9 Depth=1
	s_delay_alu instid0(VALU_DEP_1) | instskip(SKIP_3) | instid1(VALU_DEP_3)
	v_lshlrev_b64 v[6:7], 1, v[4:5]
	v_mov_b32_e32 v20, 0
	v_cmp_gt_i32_e32 vcc_lo, s22, v4
	s_mov_b32 s19, 0
	v_add_co_u32 v21, s1, s10, v6
	s_delay_alu instid0(VALU_DEP_1)
	v_add_co_ci_u32_e64 v22, s1, s11, v7, s1
	v_dual_mov_b32 v7, v1 :: v_dual_mov_b32 v6, v0
	s_branch .LBB74_12
.LBB74_11:                              ;   in Loop: Header=BB74_12 Depth=2
	s_or_b32 exec_lo, exec_lo, s20
	v_add_co_u32 v6, s1, v6, 16
	s_delay_alu instid0(VALU_DEP_1) | instskip(NEXT) | instid1(VALU_DEP_1)
	v_add_co_ci_u32_e64 v7, s1, 0, v7, s1
	v_cmp_ge_i64_e64 s1, v[6:7], v[2:3]
	s_delay_alu instid0(VALU_DEP_1) | instskip(NEXT) | instid1(SALU_CYCLE_1)
	s_or_b32 s19, s1, s19
	s_and_not1_b32 exec_lo, exec_lo, s19
	s_cbranch_execz .LBB74_17
.LBB74_12:                              ;   Parent Loop BB74_9 Depth=1
                                        ; =>  This Loop Header: Depth=2
                                        ;       Child Loop BB74_16 Depth 3
	s_delay_alu instid0(VALU_DEP_1) | instskip(NEXT) | instid1(VALU_DEP_1)
	v_add_co_u32 v8, s1, v6, v10
	v_add_co_ci_u32_e64 v9, s1, 0, v7, s1
	v_dual_mov_b32 v24, 0 :: v_dual_mov_b32 v23, 0
	s_mov_b32 s20, exec_lo
	s_delay_alu instid0(VALU_DEP_2)
	v_cmpx_lt_i64_e64 v[8:9], v[2:3]
	s_cbranch_execz .LBB74_14
; %bb.13:                               ;   in Loop: Header=BB74_12 Depth=2
	v_lshlrev_b64 v[8:9], 2, v[8:9]
	s_delay_alu instid0(VALU_DEP_1) | instskip(NEXT) | instid1(VALU_DEP_2)
	v_or_b32_e32 v25, 0, v9
	v_or_b32_e32 v24, v8, v19
	s_delay_alu instid0(VALU_DEP_1) | instskip(SKIP_2) | instid1(VALU_DEP_3)
	v_lshlrev_b64 v[26:27], 1, v[24:25]
	v_or_b32_e32 v25, 0, v25
	v_or_b32_e32 v24, s13, v24
	v_add_co_u32 v26, s1, s8, v26
	s_delay_alu instid0(VALU_DEP_1) | instskip(SKIP_1) | instid1(VALU_DEP_1)
	v_add_co_ci_u32_e64 v27, s1, s9, v27, s1
	v_add_co_u32 v8, s1, s6, v8
	v_add_co_ci_u32_e64 v9, s1, s7, v9, s1
	global_load_u16 v23, v[26:27], off
	v_lshlrev_b64 v[24:25], 1, v[24:25]
	global_load_b32 v26, v[8:9], off
	v_add_co_u32 v8, s1, s8, v24
	s_delay_alu instid0(VALU_DEP_1) | instskip(SKIP_3) | instid1(VALU_DEP_1)
	v_add_co_ci_u32_e64 v9, s1, s9, v25, s1
	global_load_d16_hi_b16 v23, v[8:9], off
	s_waitcnt vmcnt(1)
	v_subrev_nc_u32_e32 v8, s17, v26
	v_lshlrev_b32_e32 v24, 1, v8
.LBB74_14:                              ;   in Loop: Header=BB74_12 Depth=2
	s_or_b32 exec_lo, exec_lo, s20
	ds_store_b32 v13, v24
	s_waitcnt vmcnt(0)
	ds_store_b32 v14, v23
	s_waitcnt lgkmcnt(0)
	s_waitcnt_vscnt null, 0x0
	s_barrier
	buffer_gl0_inv
	s_and_saveexec_b32 s20, vcc_lo
	s_cbranch_execz .LBB74_11
; %bb.15:                               ;   in Loop: Header=BB74_12 Depth=2
	v_mov_b32_e32 v8, v12
	s_mov_b32 s21, 0
.LBB74_16:                              ;   Parent Loop BB74_9 Depth=1
                                        ;     Parent Loop BB74_12 Depth=2
                                        ; =>    This Inner Loop Header: Depth=3
	s_delay_alu instid0(SALU_CYCLE_1) | instskip(SKIP_1) | instid1(SALU_CYCLE_1)
	v_add_nc_u32_e32 v9, s21, v11
	s_add_i32 s21, s21, 8
	s_cmp_lg_u32 s21, 64
	ds_load_b64 v[23:24], v9
	s_waitcnt lgkmcnt(0)
	v_ashrrev_i32_e32 v9, 31, v23
	v_add_nc_u32_e32 v29, 1, v23
	v_mul_lo_u32 v31, v23, s5
	v_mad_u64_u32 v[25:26], null, v23, s4, 0
	v_ashrrev_i32_e32 v30, 31, v24
	v_add_nc_u32_e32 v33, 1, v24
	v_mul_lo_u32 v9, v9, s4
	v_ashrrev_i32_e32 v34, 31, v29
	v_mul_lo_u32 v32, v24, s5
	v_mad_u64_u32 v[27:28], null, v24, s4, 0
	v_mul_lo_u32 v35, v29, s5
	v_mad_u64_u32 v[23:24], null, v29, s4, 0
	v_mul_lo_u32 v36, v30, s4
	v_ashrrev_i32_e32 v37, 31, v33
	v_mul_lo_u32 v38, v33, s5
	v_mad_u64_u32 v[29:30], null, v33, s4, 0
	v_mul_lo_u32 v33, v34, s4
	v_add3_u32 v26, v26, v31, v9
	v_mul_lo_u32 v34, v37, s4
	v_add3_u32 v28, v28, v32, v36
	s_delay_alu instid0(VALU_DEP_3) | instskip(SKIP_1) | instid1(VALU_DEP_3)
	v_lshlrev_b64 v[25:26], 1, v[25:26]
	v_add3_u32 v24, v24, v35, v33
	v_lshlrev_b64 v[27:28], 1, v[27:28]
	v_add3_u32 v30, v30, v38, v34
	s_delay_alu instid0(VALU_DEP_4) | instskip(NEXT) | instid1(VALU_DEP_4)
	v_add_co_u32 v25, s1, v21, v25
	v_lshlrev_b64 v[23:24], 1, v[23:24]
	v_add_co_ci_u32_e64 v26, s1, v22, v26, s1
	s_delay_alu instid0(VALU_DEP_4) | instskip(NEXT) | instid1(VALU_DEP_3)
	v_lshlrev_b64 v[29:30], 1, v[29:30]
	v_add_co_u32 v23, s1, v21, v23
	global_load_u16 v9, v[25:26], off
	v_add_co_ci_u32_e64 v24, s1, v22, v24, s1
	v_add_co_u32 v25, s1, v21, v27
	s_delay_alu instid0(VALU_DEP_1) | instskip(SKIP_2) | instid1(VALU_DEP_1)
	v_add_co_ci_u32_e64 v26, s1, v22, v28, s1
	global_load_u16 v27, v[23:24], off
	v_add_co_u32 v23, s1, v21, v29
	v_add_co_ci_u32_e64 v24, s1, v22, v30, s1
	s_clause 0x1
	global_load_u16 v25, v[25:26], off
	global_load_u16 v23, v[23:24], off
	ds_load_b32 v24, v8
	ds_load_u16 v26, v8 offset:6
	ds_load_u16 v28, v8 offset:8
	v_add_nc_u32_e32 v8, 12, v8
	s_waitcnt vmcnt(3) lgkmcnt(2)
	v_fma_mix_f32 v9, v24, v9, v20 op_sel_hi:[1,1,0]
	s_waitcnt vmcnt(2)
	s_delay_alu instid0(VALU_DEP_1) | instskip(SKIP_1) | instid1(VALU_DEP_1)
	v_fma_mix_f32 v9, v24, v27, v9 op_sel:[1,0,0] op_sel_hi:[1,1,0]
	s_waitcnt vmcnt(1) lgkmcnt(1)
	v_fma_mix_f32 v9, v26, v25, v9 op_sel_hi:[1,1,0]
	s_waitcnt vmcnt(0) lgkmcnt(0)
	s_delay_alu instid0(VALU_DEP_1)
	v_fma_mix_f32 v20, v28, v23, v9 op_sel_hi:[1,1,0]
	s_cbranch_scc1 .LBB74_16
	s_branch .LBB74_11
.LBB74_17:                              ;   in Loop: Header=BB74_9 Depth=1
	s_or_b32 exec_lo, exec_lo, s19
.LBB74_18:                              ;   in Loop: Header=BB74_9 Depth=1
	s_delay_alu instid0(SALU_CYCLE_1) | instskip(NEXT) | instid1(SALU_CYCLE_1)
	s_or_b32 exec_lo, exec_lo, s18
	s_mov_b32 s1, exec_lo
	v_cmpx_gt_i32_e64 s22, v4
	s_cbranch_execz .LBB74_8
; %bb.19:                               ;   in Loop: Header=BB74_9 Depth=1
	s_and_b32 vcc_lo, exec_lo, s3
	s_cbranch_vccz .LBB74_25
; %bb.20:                               ;   in Loop: Header=BB74_9 Depth=1
	s_and_b32 vcc_lo, exec_lo, s16
	s_mov_b32 s18, -1
	s_cbranch_vccz .LBB74_22
; %bb.21:                               ;   in Loop: Header=BB74_9 Depth=1
	v_lshlrev_b64 v[6:7], 2, v[4:5]
	v_mul_f32_e32 v9, s2, v20
	s_mov_b32 s18, 0
	s_delay_alu instid0(VALU_DEP_2) | instskip(NEXT) | instid1(VALU_DEP_3)
	v_add_co_u32 v6, vcc_lo, v15, v6
	v_add_co_ci_u32_e32 v7, vcc_lo, v16, v7, vcc_lo
	global_load_b32 v8, v[6:7], off
	s_waitcnt vmcnt(0)
	v_fmac_f32_e32 v9, s24, v8
	global_store_b32 v[6:7], v9, off
.LBB74_22:                              ;   in Loop: Header=BB74_9 Depth=1
	s_and_not1_b32 vcc_lo, exec_lo, s18
	s_cbranch_vccnz .LBB74_24
; %bb.23:                               ;   in Loop: Header=BB74_9 Depth=1
	v_mul_lo_u32 v8, v5, s14
	v_mul_lo_u32 v9, v4, s15
	v_mad_u64_u32 v[6:7], null, v4, s14, 0
	s_delay_alu instid0(VALU_DEP_1) | instskip(SKIP_1) | instid1(VALU_DEP_2)
	v_add3_u32 v7, v7, v9, v8
	v_mul_f32_e32 v9, s2, v20
	v_lshlrev_b64 v[6:7], 2, v[6:7]
	s_delay_alu instid0(VALU_DEP_1) | instskip(NEXT) | instid1(VALU_DEP_2)
	v_add_co_u32 v6, vcc_lo, v17, v6
	v_add_co_ci_u32_e32 v7, vcc_lo, v18, v7, vcc_lo
	global_load_b32 v8, v[6:7], off
	s_waitcnt vmcnt(0)
	v_fmac_f32_e32 v9, s24, v8
	global_store_b32 v[6:7], v9, off
.LBB74_24:                              ;   in Loop: Header=BB74_9 Depth=1
	s_cbranch_execnz .LBB74_8
	s_branch .LBB74_26
.LBB74_25:                              ;   in Loop: Header=BB74_9 Depth=1
.LBB74_26:                              ;   in Loop: Header=BB74_9 Depth=1
	v_mul_f32_e32 v6, s2, v20
	s_and_b32 vcc_lo, exec_lo, s16
	s_mov_b32 s18, -1
	s_cbranch_vccz .LBB74_28
; %bb.27:                               ;   in Loop: Header=BB74_9 Depth=1
	v_lshlrev_b64 v[7:8], 2, v[4:5]
	s_mov_b32 s18, 0
	s_delay_alu instid0(VALU_DEP_1) | instskip(NEXT) | instid1(VALU_DEP_2)
	v_add_co_u32 v7, vcc_lo, v15, v7
	v_add_co_ci_u32_e32 v8, vcc_lo, v16, v8, vcc_lo
	global_store_b32 v[7:8], v6, off
.LBB74_28:                              ;   in Loop: Header=BB74_9 Depth=1
	s_and_not1_b32 vcc_lo, exec_lo, s18
	s_cbranch_vccnz .LBB74_8
; %bb.29:                               ;   in Loop: Header=BB74_9 Depth=1
	v_mul_lo_u32 v5, v5, s14
	v_mul_lo_u32 v9, v4, s15
	v_mad_u64_u32 v[7:8], null, v4, s14, 0
	s_delay_alu instid0(VALU_DEP_1) | instskip(NEXT) | instid1(VALU_DEP_1)
	v_add3_u32 v8, v8, v9, v5
	v_lshlrev_b64 v[4:5], 2, v[7:8]
	s_delay_alu instid0(VALU_DEP_1) | instskip(NEXT) | instid1(VALU_DEP_2)
	v_add_co_u32 v4, vcc_lo, v17, v4
	v_add_co_ci_u32_e32 v5, vcc_lo, v18, v5, vcc_lo
	global_store_b32 v[4:5], v6, off
	s_branch .LBB74_8
.LBB74_30:
	s_nop 0
	s_sendmsg sendmsg(MSG_DEALLOC_VGPRS)
	s_endpgm
	.section	.rodata,"a",@progbits
	.p2align	6, 0x0
	.amdhsa_kernel _ZN9rocsparseL29bsrmmnt_small_blockdim_kernelILj64ELj16ELj2EliDF16_DF16_ffEEv20rocsparse_direction_T3_S2_llNS_24const_host_device_scalarIT7_EEPKT2_PKS2_PKT4_PKT5_llS5_PT6_ll16rocsparse_order_21rocsparse_index_base_b
		.amdhsa_group_segment_fixed_size 640
		.amdhsa_private_segment_fixed_size 0
		.amdhsa_kernarg_size 392
		.amdhsa_user_sgpr_count 15
		.amdhsa_user_sgpr_dispatch_ptr 0
		.amdhsa_user_sgpr_queue_ptr 0
		.amdhsa_user_sgpr_kernarg_segment_ptr 1
		.amdhsa_user_sgpr_dispatch_id 0
		.amdhsa_user_sgpr_private_segment_size 0
		.amdhsa_wavefront_size32 1
		.amdhsa_uses_dynamic_stack 0
		.amdhsa_enable_private_segment 0
		.amdhsa_system_sgpr_workgroup_id_x 1
		.amdhsa_system_sgpr_workgroup_id_y 0
		.amdhsa_system_sgpr_workgroup_id_z 0
		.amdhsa_system_sgpr_workgroup_info 0
		.amdhsa_system_vgpr_workitem_id 0
		.amdhsa_next_free_vgpr 39
		.amdhsa_next_free_sgpr 26
		.amdhsa_reserve_vcc 1
		.amdhsa_float_round_mode_32 0
		.amdhsa_float_round_mode_16_64 0
		.amdhsa_float_denorm_mode_32 3
		.amdhsa_float_denorm_mode_16_64 3
		.amdhsa_dx10_clamp 1
		.amdhsa_ieee_mode 1
		.amdhsa_fp16_overflow 0
		.amdhsa_workgroup_processor_mode 1
		.amdhsa_memory_ordered 1
		.amdhsa_forward_progress 0
		.amdhsa_shared_vgpr_count 0
		.amdhsa_exception_fp_ieee_invalid_op 0
		.amdhsa_exception_fp_denorm_src 0
		.amdhsa_exception_fp_ieee_div_zero 0
		.amdhsa_exception_fp_ieee_overflow 0
		.amdhsa_exception_fp_ieee_underflow 0
		.amdhsa_exception_fp_ieee_inexact 0
		.amdhsa_exception_int_div_zero 0
	.end_amdhsa_kernel
	.section	.text._ZN9rocsparseL29bsrmmnt_small_blockdim_kernelILj64ELj16ELj2EliDF16_DF16_ffEEv20rocsparse_direction_T3_S2_llNS_24const_host_device_scalarIT7_EEPKT2_PKS2_PKT4_PKT5_llS5_PT6_ll16rocsparse_order_21rocsparse_index_base_b,"axG",@progbits,_ZN9rocsparseL29bsrmmnt_small_blockdim_kernelILj64ELj16ELj2EliDF16_DF16_ffEEv20rocsparse_direction_T3_S2_llNS_24const_host_device_scalarIT7_EEPKT2_PKS2_PKT4_PKT5_llS5_PT6_ll16rocsparse_order_21rocsparse_index_base_b,comdat
.Lfunc_end74:
	.size	_ZN9rocsparseL29bsrmmnt_small_blockdim_kernelILj64ELj16ELj2EliDF16_DF16_ffEEv20rocsparse_direction_T3_S2_llNS_24const_host_device_scalarIT7_EEPKT2_PKS2_PKT4_PKT5_llS5_PT6_ll16rocsparse_order_21rocsparse_index_base_b, .Lfunc_end74-_ZN9rocsparseL29bsrmmnt_small_blockdim_kernelILj64ELj16ELj2EliDF16_DF16_ffEEv20rocsparse_direction_T3_S2_llNS_24const_host_device_scalarIT7_EEPKT2_PKS2_PKT4_PKT5_llS5_PT6_ll16rocsparse_order_21rocsparse_index_base_b
                                        ; -- End function
	.section	.AMDGPU.csdata,"",@progbits
; Kernel info:
; codeLenInByte = 1632
; NumSgprs: 28
; NumVgprs: 39
; ScratchSize: 0
; MemoryBound: 0
; FloatMode: 240
; IeeeMode: 1
; LDSByteSize: 640 bytes/workgroup (compile time only)
; SGPRBlocks: 3
; VGPRBlocks: 4
; NumSGPRsForWavesPerEU: 28
; NumVGPRsForWavesPerEU: 39
; Occupancy: 16
; WaveLimiterHint : 0
; COMPUTE_PGM_RSRC2:SCRATCH_EN: 0
; COMPUTE_PGM_RSRC2:USER_SGPR: 15
; COMPUTE_PGM_RSRC2:TRAP_HANDLER: 0
; COMPUTE_PGM_RSRC2:TGID_X_EN: 1
; COMPUTE_PGM_RSRC2:TGID_Y_EN: 0
; COMPUTE_PGM_RSRC2:TGID_Z_EN: 0
; COMPUTE_PGM_RSRC2:TIDIG_COMP_CNT: 0
	.section	.text._ZN9rocsparseL29bsrmmnt_small_blockdim_kernelILj64ELj32ELj2EliDF16_DF16_ffEEv20rocsparse_direction_T3_S2_llNS_24const_host_device_scalarIT7_EEPKT2_PKS2_PKT4_PKT5_llS5_PT6_ll16rocsparse_order_21rocsparse_index_base_b,"axG",@progbits,_ZN9rocsparseL29bsrmmnt_small_blockdim_kernelILj64ELj32ELj2EliDF16_DF16_ffEEv20rocsparse_direction_T3_S2_llNS_24const_host_device_scalarIT7_EEPKT2_PKS2_PKT4_PKT5_llS5_PT6_ll16rocsparse_order_21rocsparse_index_base_b,comdat
	.globl	_ZN9rocsparseL29bsrmmnt_small_blockdim_kernelILj64ELj32ELj2EliDF16_DF16_ffEEv20rocsparse_direction_T3_S2_llNS_24const_host_device_scalarIT7_EEPKT2_PKS2_PKT4_PKT5_llS5_PT6_ll16rocsparse_order_21rocsparse_index_base_b ; -- Begin function _ZN9rocsparseL29bsrmmnt_small_blockdim_kernelILj64ELj32ELj2EliDF16_DF16_ffEEv20rocsparse_direction_T3_S2_llNS_24const_host_device_scalarIT7_EEPKT2_PKS2_PKT4_PKT5_llS5_PT6_ll16rocsparse_order_21rocsparse_index_base_b
	.p2align	8
	.type	_ZN9rocsparseL29bsrmmnt_small_blockdim_kernelILj64ELj32ELj2EliDF16_DF16_ffEEv20rocsparse_direction_T3_S2_llNS_24const_host_device_scalarIT7_EEPKT2_PKS2_PKT4_PKT5_llS5_PT6_ll16rocsparse_order_21rocsparse_index_base_b,@function
_ZN9rocsparseL29bsrmmnt_small_blockdim_kernelILj64ELj32ELj2EliDF16_DF16_ffEEv20rocsparse_direction_T3_S2_llNS_24const_host_device_scalarIT7_EEPKT2_PKS2_PKT4_PKT5_llS5_PT6_ll16rocsparse_order_21rocsparse_index_base_b: ; @_ZN9rocsparseL29bsrmmnt_small_blockdim_kernelILj64ELj32ELj2EliDF16_DF16_ffEEv20rocsparse_direction_T3_S2_llNS_24const_host_device_scalarIT7_EEPKT2_PKS2_PKT4_PKT5_llS5_PT6_ll16rocsparse_order_21rocsparse_index_base_b
; %bb.0:
	s_clause 0x2
	s_load_b128 s[16:19], s[0:1], 0x78
	s_load_b64 s[2:3], s[0:1], 0x20
	s_load_b64 s[24:25], s[0:1], 0x58
	s_waitcnt lgkmcnt(0)
	s_bitcmp1_b32 s18, 0
	s_cselect_b32 s4, -1, 0
	s_delay_alu instid0(SALU_CYCLE_1)
	s_and_b32 vcc_lo, exec_lo, s4
	s_xor_b32 s4, s4, -1
	s_cbranch_vccnz .LBB75_2
; %bb.1:
	s_load_b32 s2, s[2:3], 0x0
.LBB75_2:
	s_and_not1_b32 vcc_lo, exec_lo, s4
	s_cbranch_vccnz .LBB75_4
; %bb.3:
	s_load_b32 s24, s[24:25], 0x0
.LBB75_4:
	s_waitcnt lgkmcnt(0)
	v_cmp_eq_f32_e64 s3, s2, 0
	v_cmp_eq_f32_e64 s4, s24, 1.0
	s_delay_alu instid0(VALU_DEP_1) | instskip(NEXT) | instid1(SALU_CYCLE_1)
	s_and_b32 s3, s3, s4
	s_and_b32 vcc_lo, exec_lo, s3
	s_cbranch_vccnz .LBB75_30
; %bb.5:
	s_clause 0x1
	s_load_b32 s3, s[0:1], 0x94
	s_load_b128 s[20:23], s[0:1], 0x0
	s_waitcnt lgkmcnt(0)
	s_and_b32 s3, s3, 0xffff
	s_delay_alu instid0(SALU_CYCLE_1) | instskip(SKIP_1) | instid1(VALU_DEP_1)
	v_mad_u64_u32 v[1:2], null, s15, s3, v[0:1]
	s_mov_b32 s3, exec_lo
	v_lshrrev_b32_e32 v2, 6, v1
	s_delay_alu instid0(VALU_DEP_1)
	v_cmpx_gt_i32_e64 s21, v2
	s_cbranch_execz .LBB75_30
; %bb.6:
	s_cmp_lt_i32 s22, 1
	s_cbranch_scc1 .LBB75_30
; %bb.7:
	s_load_b256 s[4:11], s[0:1], 0x28
	v_lshlrev_b32_e32 v2, 3, v2
	s_load_b128 s[12:15], s[0:1], 0x60
	v_lshrrev_b32_e32 v13, 5, v1
	v_and_b32_e32 v10, 31, v0
	v_bfe_u32 v19, v1, 5, 1
	s_cmp_lg_u32 s16, 1
	v_cmp_neq_f32_e64 s3, s24, 0
	s_cselect_b32 s16, -1, 0
	s_cmp_eq_u32 s20, 0
	v_lshlrev_b32_e32 v17, 2, v13
	s_waitcnt lgkmcnt(0)
	global_load_b128 v[4:7], v2, s[4:5]
	s_load_b64 s[4:5], s[0:1], 0x48
	v_mad_u64_u32 v[2:3], null, v13, s14, 0
	s_cselect_b32 s1, -1, 0
	s_waitcnt vmcnt(0)
	s_delay_alu instid0(VALU_DEP_1) | instskip(SKIP_3) | instid1(VALU_DEP_3)
	v_mad_u64_u32 v[8:9], null, v13, s15, v[3:4]
	v_lshrrev_b32_e32 v9, 5, v0
	v_mul_u32_u24_e32 v0, 3, v10
	v_cmp_lt_i64_e64 s0, v[4:5], v[6:7]
	v_lshl_add_u32 v11, v9, 7, 0x180
	s_delay_alu instid0(VALU_DEP_3) | instskip(SKIP_2) | instid1(VALU_DEP_4)
	v_dual_mov_b32 v3, v8 :: v_dual_lshlrev_b32 v14, 1, v0
	v_cndmask_b32_e64 v8, 0, 1, s1
	v_mul_u32_u24_e32 v12, 0xc0, v9
	v_lshl_or_b32 v13, v10, 2, v11
	s_delay_alu instid0(VALU_DEP_4) | instskip(SKIP_3) | instid1(VALU_DEP_3)
	v_lshlrev_b64 v[0:1], 2, v[2:3]
	v_mad_u32_u24 v14, 0xc0, v9, v14
	v_lshlrev_b32_e32 v19, v8, v19
	s_and_b32 s1, s1, exec_lo
	v_add_co_u32 v15, vcc_lo, s12, v0
	s_delay_alu instid0(VALU_DEP_4)
	v_add_co_ci_u32_e32 v16, vcc_lo, s13, v1, vcc_lo
	v_sub_co_u32 v0, vcc_lo, v4, s17
	v_subrev_co_ci_u32_e32 v1, vcc_lo, 0, v5, vcc_lo
	v_sub_co_u32 v2, vcc_lo, v6, s17
	v_add_co_u32 v17, s12, s12, v17
	v_subrev_co_ci_u32_e32 v3, vcc_lo, 0, v7, vcc_lo
	v_add_co_ci_u32_e64 v18, null, s13, 0, s12
	s_mov_b32 s12, 0
	s_cselect_b32 s13, 1, 2
	s_branch .LBB75_9
.LBB75_8:                               ;   in Loop: Header=BB75_9 Depth=1
	s_or_b32 exec_lo, exec_lo, s1
	s_add_i32 s12, s12, 32
	s_delay_alu instid0(SALU_CYCLE_1)
	s_cmp_lt_i32 s12, s22
	s_cbranch_scc0 .LBB75_30
.LBB75_9:                               ; =>This Loop Header: Depth=1
                                        ;     Child Loop BB75_12 Depth 2
                                        ;       Child Loop BB75_16 Depth 3
	v_or_b32_e32 v4, s12, v10
	v_mov_b32_e32 v20, 0
	s_delay_alu instid0(VALU_DEP_2)
	v_ashrrev_i32_e32 v5, 31, v4
	s_and_saveexec_b32 s18, s0
	s_cbranch_execz .LBB75_18
; %bb.10:                               ;   in Loop: Header=BB75_9 Depth=1
	s_delay_alu instid0(VALU_DEP_1) | instskip(SKIP_3) | instid1(VALU_DEP_3)
	v_lshlrev_b64 v[6:7], 1, v[4:5]
	v_mov_b32_e32 v20, 0
	v_cmp_gt_i32_e32 vcc_lo, s22, v4
	s_mov_b32 s19, 0
	v_add_co_u32 v21, s1, s10, v6
	s_delay_alu instid0(VALU_DEP_1)
	v_add_co_ci_u32_e64 v22, s1, s11, v7, s1
	v_dual_mov_b32 v7, v1 :: v_dual_mov_b32 v6, v0
	s_branch .LBB75_12
.LBB75_11:                              ;   in Loop: Header=BB75_12 Depth=2
	s_or_b32 exec_lo, exec_lo, s20
	v_add_co_u32 v6, s1, v6, 32
	s_delay_alu instid0(VALU_DEP_1) | instskip(NEXT) | instid1(VALU_DEP_1)
	v_add_co_ci_u32_e64 v7, s1, 0, v7, s1
	v_cmp_ge_i64_e64 s1, v[6:7], v[2:3]
	s_delay_alu instid0(VALU_DEP_1) | instskip(NEXT) | instid1(SALU_CYCLE_1)
	s_or_b32 s19, s1, s19
	s_and_not1_b32 exec_lo, exec_lo, s19
	s_cbranch_execz .LBB75_17
.LBB75_12:                              ;   Parent Loop BB75_9 Depth=1
                                        ; =>  This Loop Header: Depth=2
                                        ;       Child Loop BB75_16 Depth 3
	s_delay_alu instid0(VALU_DEP_1) | instskip(NEXT) | instid1(VALU_DEP_1)
	v_add_co_u32 v8, s1, v6, v10
	v_add_co_ci_u32_e64 v9, s1, 0, v7, s1
	v_dual_mov_b32 v24, 0 :: v_dual_mov_b32 v23, 0
	s_mov_b32 s20, exec_lo
	s_delay_alu instid0(VALU_DEP_2)
	v_cmpx_lt_i64_e64 v[8:9], v[2:3]
	s_cbranch_execz .LBB75_14
; %bb.13:                               ;   in Loop: Header=BB75_12 Depth=2
	v_lshlrev_b64 v[8:9], 2, v[8:9]
	s_delay_alu instid0(VALU_DEP_1) | instskip(NEXT) | instid1(VALU_DEP_2)
	v_or_b32_e32 v25, 0, v9
	v_or_b32_e32 v24, v8, v19
	s_delay_alu instid0(VALU_DEP_1) | instskip(SKIP_2) | instid1(VALU_DEP_3)
	v_lshlrev_b64 v[26:27], 1, v[24:25]
	v_or_b32_e32 v25, 0, v25
	v_or_b32_e32 v24, s13, v24
	v_add_co_u32 v26, s1, s8, v26
	s_delay_alu instid0(VALU_DEP_1) | instskip(SKIP_1) | instid1(VALU_DEP_1)
	v_add_co_ci_u32_e64 v27, s1, s9, v27, s1
	v_add_co_u32 v8, s1, s6, v8
	v_add_co_ci_u32_e64 v9, s1, s7, v9, s1
	global_load_u16 v23, v[26:27], off
	v_lshlrev_b64 v[24:25], 1, v[24:25]
	global_load_b32 v26, v[8:9], off
	v_add_co_u32 v8, s1, s8, v24
	s_delay_alu instid0(VALU_DEP_1) | instskip(SKIP_3) | instid1(VALU_DEP_1)
	v_add_co_ci_u32_e64 v9, s1, s9, v25, s1
	global_load_d16_hi_b16 v23, v[8:9], off
	s_waitcnt vmcnt(1)
	v_subrev_nc_u32_e32 v8, s17, v26
	v_lshlrev_b32_e32 v24, 1, v8
.LBB75_14:                              ;   in Loop: Header=BB75_12 Depth=2
	s_or_b32 exec_lo, exec_lo, s20
	ds_store_b32 v13, v24
	s_waitcnt vmcnt(0)
	ds_store_b32 v14, v23
	s_waitcnt lgkmcnt(0)
	s_waitcnt_vscnt null, 0x0
	s_barrier
	buffer_gl0_inv
	s_and_saveexec_b32 s20, vcc_lo
	s_cbranch_execz .LBB75_11
; %bb.15:                               ;   in Loop: Header=BB75_12 Depth=2
	v_mov_b32_e32 v8, v12
	s_mov_b32 s21, 0
.LBB75_16:                              ;   Parent Loop BB75_9 Depth=1
                                        ;     Parent Loop BB75_12 Depth=2
                                        ; =>    This Inner Loop Header: Depth=3
	s_delay_alu instid0(SALU_CYCLE_1) | instskip(SKIP_1) | instid1(SALU_CYCLE_1)
	v_add_nc_u32_e32 v9, s21, v11
	s_add_i32 s21, s21, 8
	s_cmpk_lg_i32 s21, 0x80
	ds_load_b64 v[23:24], v9
	s_waitcnt lgkmcnt(0)
	v_ashrrev_i32_e32 v9, 31, v23
	v_add_nc_u32_e32 v29, 1, v23
	v_mul_lo_u32 v31, v23, s5
	v_mad_u64_u32 v[25:26], null, v23, s4, 0
	v_ashrrev_i32_e32 v30, 31, v24
	v_add_nc_u32_e32 v33, 1, v24
	v_mul_lo_u32 v9, v9, s4
	v_ashrrev_i32_e32 v34, 31, v29
	v_mul_lo_u32 v32, v24, s5
	v_mad_u64_u32 v[27:28], null, v24, s4, 0
	v_mul_lo_u32 v35, v29, s5
	v_mad_u64_u32 v[23:24], null, v29, s4, 0
	v_mul_lo_u32 v36, v30, s4
	v_ashrrev_i32_e32 v37, 31, v33
	v_mul_lo_u32 v38, v33, s5
	v_mad_u64_u32 v[29:30], null, v33, s4, 0
	v_mul_lo_u32 v33, v34, s4
	v_add3_u32 v26, v26, v31, v9
	v_mul_lo_u32 v34, v37, s4
	v_add3_u32 v28, v28, v32, v36
	s_delay_alu instid0(VALU_DEP_3) | instskip(SKIP_1) | instid1(VALU_DEP_3)
	v_lshlrev_b64 v[25:26], 1, v[25:26]
	v_add3_u32 v24, v24, v35, v33
	v_lshlrev_b64 v[27:28], 1, v[27:28]
	v_add3_u32 v30, v30, v38, v34
	s_delay_alu instid0(VALU_DEP_4) | instskip(NEXT) | instid1(VALU_DEP_4)
	v_add_co_u32 v25, s1, v21, v25
	v_lshlrev_b64 v[23:24], 1, v[23:24]
	v_add_co_ci_u32_e64 v26, s1, v22, v26, s1
	s_delay_alu instid0(VALU_DEP_4) | instskip(NEXT) | instid1(VALU_DEP_3)
	v_lshlrev_b64 v[29:30], 1, v[29:30]
	v_add_co_u32 v23, s1, v21, v23
	global_load_u16 v9, v[25:26], off
	v_add_co_ci_u32_e64 v24, s1, v22, v24, s1
	v_add_co_u32 v25, s1, v21, v27
	s_delay_alu instid0(VALU_DEP_1) | instskip(SKIP_2) | instid1(VALU_DEP_1)
	v_add_co_ci_u32_e64 v26, s1, v22, v28, s1
	global_load_u16 v27, v[23:24], off
	v_add_co_u32 v23, s1, v21, v29
	v_add_co_ci_u32_e64 v24, s1, v22, v30, s1
	s_clause 0x1
	global_load_u16 v25, v[25:26], off
	global_load_u16 v23, v[23:24], off
	ds_load_b32 v24, v8
	ds_load_u16 v26, v8 offset:6
	ds_load_u16 v28, v8 offset:8
	v_add_nc_u32_e32 v8, 12, v8
	s_waitcnt vmcnt(3) lgkmcnt(2)
	v_fma_mix_f32 v9, v24, v9, v20 op_sel_hi:[1,1,0]
	s_waitcnt vmcnt(2)
	s_delay_alu instid0(VALU_DEP_1) | instskip(SKIP_1) | instid1(VALU_DEP_1)
	v_fma_mix_f32 v9, v24, v27, v9 op_sel:[1,0,0] op_sel_hi:[1,1,0]
	s_waitcnt vmcnt(1) lgkmcnt(1)
	v_fma_mix_f32 v9, v26, v25, v9 op_sel_hi:[1,1,0]
	s_waitcnt vmcnt(0) lgkmcnt(0)
	s_delay_alu instid0(VALU_DEP_1)
	v_fma_mix_f32 v20, v28, v23, v9 op_sel_hi:[1,1,0]
	s_cbranch_scc1 .LBB75_16
	s_branch .LBB75_11
.LBB75_17:                              ;   in Loop: Header=BB75_9 Depth=1
	s_or_b32 exec_lo, exec_lo, s19
.LBB75_18:                              ;   in Loop: Header=BB75_9 Depth=1
	s_delay_alu instid0(SALU_CYCLE_1) | instskip(NEXT) | instid1(SALU_CYCLE_1)
	s_or_b32 exec_lo, exec_lo, s18
	s_mov_b32 s1, exec_lo
	v_cmpx_gt_i32_e64 s22, v4
	s_cbranch_execz .LBB75_8
; %bb.19:                               ;   in Loop: Header=BB75_9 Depth=1
	s_and_b32 vcc_lo, exec_lo, s3
	s_cbranch_vccz .LBB75_25
; %bb.20:                               ;   in Loop: Header=BB75_9 Depth=1
	s_and_b32 vcc_lo, exec_lo, s16
	s_mov_b32 s18, -1
	s_cbranch_vccz .LBB75_22
; %bb.21:                               ;   in Loop: Header=BB75_9 Depth=1
	v_lshlrev_b64 v[6:7], 2, v[4:5]
	v_mul_f32_e32 v9, s2, v20
	s_mov_b32 s18, 0
	s_delay_alu instid0(VALU_DEP_2) | instskip(NEXT) | instid1(VALU_DEP_3)
	v_add_co_u32 v6, vcc_lo, v15, v6
	v_add_co_ci_u32_e32 v7, vcc_lo, v16, v7, vcc_lo
	global_load_b32 v8, v[6:7], off
	s_waitcnt vmcnt(0)
	v_fmac_f32_e32 v9, s24, v8
	global_store_b32 v[6:7], v9, off
.LBB75_22:                              ;   in Loop: Header=BB75_9 Depth=1
	s_and_not1_b32 vcc_lo, exec_lo, s18
	s_cbranch_vccnz .LBB75_24
; %bb.23:                               ;   in Loop: Header=BB75_9 Depth=1
	v_mul_lo_u32 v8, v5, s14
	v_mul_lo_u32 v9, v4, s15
	v_mad_u64_u32 v[6:7], null, v4, s14, 0
	s_delay_alu instid0(VALU_DEP_1) | instskip(SKIP_1) | instid1(VALU_DEP_2)
	v_add3_u32 v7, v7, v9, v8
	v_mul_f32_e32 v9, s2, v20
	v_lshlrev_b64 v[6:7], 2, v[6:7]
	s_delay_alu instid0(VALU_DEP_1) | instskip(NEXT) | instid1(VALU_DEP_2)
	v_add_co_u32 v6, vcc_lo, v17, v6
	v_add_co_ci_u32_e32 v7, vcc_lo, v18, v7, vcc_lo
	global_load_b32 v8, v[6:7], off
	s_waitcnt vmcnt(0)
	v_fmac_f32_e32 v9, s24, v8
	global_store_b32 v[6:7], v9, off
.LBB75_24:                              ;   in Loop: Header=BB75_9 Depth=1
	s_cbranch_execnz .LBB75_8
	s_branch .LBB75_26
.LBB75_25:                              ;   in Loop: Header=BB75_9 Depth=1
.LBB75_26:                              ;   in Loop: Header=BB75_9 Depth=1
	v_mul_f32_e32 v6, s2, v20
	s_and_b32 vcc_lo, exec_lo, s16
	s_mov_b32 s18, -1
	s_cbranch_vccz .LBB75_28
; %bb.27:                               ;   in Loop: Header=BB75_9 Depth=1
	v_lshlrev_b64 v[7:8], 2, v[4:5]
	s_mov_b32 s18, 0
	s_delay_alu instid0(VALU_DEP_1) | instskip(NEXT) | instid1(VALU_DEP_2)
	v_add_co_u32 v7, vcc_lo, v15, v7
	v_add_co_ci_u32_e32 v8, vcc_lo, v16, v8, vcc_lo
	global_store_b32 v[7:8], v6, off
.LBB75_28:                              ;   in Loop: Header=BB75_9 Depth=1
	s_and_not1_b32 vcc_lo, exec_lo, s18
	s_cbranch_vccnz .LBB75_8
; %bb.29:                               ;   in Loop: Header=BB75_9 Depth=1
	v_mul_lo_u32 v5, v5, s14
	v_mul_lo_u32 v9, v4, s15
	v_mad_u64_u32 v[7:8], null, v4, s14, 0
	s_delay_alu instid0(VALU_DEP_1) | instskip(NEXT) | instid1(VALU_DEP_1)
	v_add3_u32 v8, v8, v9, v5
	v_lshlrev_b64 v[4:5], 2, v[7:8]
	s_delay_alu instid0(VALU_DEP_1) | instskip(NEXT) | instid1(VALU_DEP_2)
	v_add_co_u32 v4, vcc_lo, v17, v4
	v_add_co_ci_u32_e32 v5, vcc_lo, v18, v5, vcc_lo
	global_store_b32 v[4:5], v6, off
	s_branch .LBB75_8
.LBB75_30:
	s_nop 0
	s_sendmsg sendmsg(MSG_DEALLOC_VGPRS)
	s_endpgm
	.section	.rodata,"a",@progbits
	.p2align	6, 0x0
	.amdhsa_kernel _ZN9rocsparseL29bsrmmnt_small_blockdim_kernelILj64ELj32ELj2EliDF16_DF16_ffEEv20rocsparse_direction_T3_S2_llNS_24const_host_device_scalarIT7_EEPKT2_PKS2_PKT4_PKT5_llS5_PT6_ll16rocsparse_order_21rocsparse_index_base_b
		.amdhsa_group_segment_fixed_size 640
		.amdhsa_private_segment_fixed_size 0
		.amdhsa_kernarg_size 392
		.amdhsa_user_sgpr_count 15
		.amdhsa_user_sgpr_dispatch_ptr 0
		.amdhsa_user_sgpr_queue_ptr 0
		.amdhsa_user_sgpr_kernarg_segment_ptr 1
		.amdhsa_user_sgpr_dispatch_id 0
		.amdhsa_user_sgpr_private_segment_size 0
		.amdhsa_wavefront_size32 1
		.amdhsa_uses_dynamic_stack 0
		.amdhsa_enable_private_segment 0
		.amdhsa_system_sgpr_workgroup_id_x 1
		.amdhsa_system_sgpr_workgroup_id_y 0
		.amdhsa_system_sgpr_workgroup_id_z 0
		.amdhsa_system_sgpr_workgroup_info 0
		.amdhsa_system_vgpr_workitem_id 0
		.amdhsa_next_free_vgpr 39
		.amdhsa_next_free_sgpr 26
		.amdhsa_reserve_vcc 1
		.amdhsa_float_round_mode_32 0
		.amdhsa_float_round_mode_16_64 0
		.amdhsa_float_denorm_mode_32 3
		.amdhsa_float_denorm_mode_16_64 3
		.amdhsa_dx10_clamp 1
		.amdhsa_ieee_mode 1
		.amdhsa_fp16_overflow 0
		.amdhsa_workgroup_processor_mode 1
		.amdhsa_memory_ordered 1
		.amdhsa_forward_progress 0
		.amdhsa_shared_vgpr_count 0
		.amdhsa_exception_fp_ieee_invalid_op 0
		.amdhsa_exception_fp_denorm_src 0
		.amdhsa_exception_fp_ieee_div_zero 0
		.amdhsa_exception_fp_ieee_overflow 0
		.amdhsa_exception_fp_ieee_underflow 0
		.amdhsa_exception_fp_ieee_inexact 0
		.amdhsa_exception_int_div_zero 0
	.end_amdhsa_kernel
	.section	.text._ZN9rocsparseL29bsrmmnt_small_blockdim_kernelILj64ELj32ELj2EliDF16_DF16_ffEEv20rocsparse_direction_T3_S2_llNS_24const_host_device_scalarIT7_EEPKT2_PKS2_PKT4_PKT5_llS5_PT6_ll16rocsparse_order_21rocsparse_index_base_b,"axG",@progbits,_ZN9rocsparseL29bsrmmnt_small_blockdim_kernelILj64ELj32ELj2EliDF16_DF16_ffEEv20rocsparse_direction_T3_S2_llNS_24const_host_device_scalarIT7_EEPKT2_PKS2_PKT4_PKT5_llS5_PT6_ll16rocsparse_order_21rocsparse_index_base_b,comdat
.Lfunc_end75:
	.size	_ZN9rocsparseL29bsrmmnt_small_blockdim_kernelILj64ELj32ELj2EliDF16_DF16_ffEEv20rocsparse_direction_T3_S2_llNS_24const_host_device_scalarIT7_EEPKT2_PKS2_PKT4_PKT5_llS5_PT6_ll16rocsparse_order_21rocsparse_index_base_b, .Lfunc_end75-_ZN9rocsparseL29bsrmmnt_small_blockdim_kernelILj64ELj32ELj2EliDF16_DF16_ffEEv20rocsparse_direction_T3_S2_llNS_24const_host_device_scalarIT7_EEPKT2_PKS2_PKT4_PKT5_llS5_PT6_ll16rocsparse_order_21rocsparse_index_base_b
                                        ; -- End function
	.section	.AMDGPU.csdata,"",@progbits
; Kernel info:
; codeLenInByte = 1632
; NumSgprs: 28
; NumVgprs: 39
; ScratchSize: 0
; MemoryBound: 0
; FloatMode: 240
; IeeeMode: 1
; LDSByteSize: 640 bytes/workgroup (compile time only)
; SGPRBlocks: 3
; VGPRBlocks: 4
; NumSGPRsForWavesPerEU: 28
; NumVGPRsForWavesPerEU: 39
; Occupancy: 16
; WaveLimiterHint : 0
; COMPUTE_PGM_RSRC2:SCRATCH_EN: 0
; COMPUTE_PGM_RSRC2:USER_SGPR: 15
; COMPUTE_PGM_RSRC2:TRAP_HANDLER: 0
; COMPUTE_PGM_RSRC2:TGID_X_EN: 1
; COMPUTE_PGM_RSRC2:TGID_Y_EN: 0
; COMPUTE_PGM_RSRC2:TGID_Z_EN: 0
; COMPUTE_PGM_RSRC2:TIDIG_COMP_CNT: 0
	.section	.text._ZN9rocsparseL29bsrmmnt_small_blockdim_kernelILj64ELj64ELj2EliDF16_DF16_ffEEv20rocsparse_direction_T3_S2_llNS_24const_host_device_scalarIT7_EEPKT2_PKS2_PKT4_PKT5_llS5_PT6_ll16rocsparse_order_21rocsparse_index_base_b,"axG",@progbits,_ZN9rocsparseL29bsrmmnt_small_blockdim_kernelILj64ELj64ELj2EliDF16_DF16_ffEEv20rocsparse_direction_T3_S2_llNS_24const_host_device_scalarIT7_EEPKT2_PKS2_PKT4_PKT5_llS5_PT6_ll16rocsparse_order_21rocsparse_index_base_b,comdat
	.globl	_ZN9rocsparseL29bsrmmnt_small_blockdim_kernelILj64ELj64ELj2EliDF16_DF16_ffEEv20rocsparse_direction_T3_S2_llNS_24const_host_device_scalarIT7_EEPKT2_PKS2_PKT4_PKT5_llS5_PT6_ll16rocsparse_order_21rocsparse_index_base_b ; -- Begin function _ZN9rocsparseL29bsrmmnt_small_blockdim_kernelILj64ELj64ELj2EliDF16_DF16_ffEEv20rocsparse_direction_T3_S2_llNS_24const_host_device_scalarIT7_EEPKT2_PKS2_PKT4_PKT5_llS5_PT6_ll16rocsparse_order_21rocsparse_index_base_b
	.p2align	8
	.type	_ZN9rocsparseL29bsrmmnt_small_blockdim_kernelILj64ELj64ELj2EliDF16_DF16_ffEEv20rocsparse_direction_T3_S2_llNS_24const_host_device_scalarIT7_EEPKT2_PKS2_PKT4_PKT5_llS5_PT6_ll16rocsparse_order_21rocsparse_index_base_b,@function
_ZN9rocsparseL29bsrmmnt_small_blockdim_kernelILj64ELj64ELj2EliDF16_DF16_ffEEv20rocsparse_direction_T3_S2_llNS_24const_host_device_scalarIT7_EEPKT2_PKS2_PKT4_PKT5_llS5_PT6_ll16rocsparse_order_21rocsparse_index_base_b: ; @_ZN9rocsparseL29bsrmmnt_small_blockdim_kernelILj64ELj64ELj2EliDF16_DF16_ffEEv20rocsparse_direction_T3_S2_llNS_24const_host_device_scalarIT7_EEPKT2_PKS2_PKT4_PKT5_llS5_PT6_ll16rocsparse_order_21rocsparse_index_base_b
; %bb.0:
	s_clause 0x2
	s_load_b128 s[16:19], s[0:1], 0x78
	s_load_b64 s[2:3], s[0:1], 0x20
	s_load_b64 s[24:25], s[0:1], 0x58
	s_waitcnt lgkmcnt(0)
	s_bitcmp1_b32 s18, 0
	s_cselect_b32 s4, -1, 0
	s_delay_alu instid0(SALU_CYCLE_1)
	s_and_b32 vcc_lo, exec_lo, s4
	s_xor_b32 s4, s4, -1
	s_cbranch_vccnz .LBB76_2
; %bb.1:
	s_load_b32 s2, s[2:3], 0x0
.LBB76_2:
	s_and_not1_b32 vcc_lo, exec_lo, s4
	s_cbranch_vccnz .LBB76_4
; %bb.3:
	s_load_b32 s24, s[24:25], 0x0
.LBB76_4:
	s_waitcnt lgkmcnt(0)
	v_cmp_eq_f32_e64 s3, s2, 0
	v_cmp_eq_f32_e64 s4, s24, 1.0
	s_delay_alu instid0(VALU_DEP_1) | instskip(NEXT) | instid1(SALU_CYCLE_1)
	s_and_b32 s3, s3, s4
	s_and_b32 vcc_lo, exec_lo, s3
	s_cbranch_vccnz .LBB76_30
; %bb.5:
	s_clause 0x1
	s_load_b32 s3, s[0:1], 0x94
	s_load_b128 s[20:23], s[0:1], 0x0
	s_waitcnt lgkmcnt(0)
	s_and_b32 s3, s3, 0xffff
	s_delay_alu instid0(SALU_CYCLE_1) | instskip(SKIP_1) | instid1(VALU_DEP_1)
	v_mad_u64_u32 v[1:2], null, s15, s3, v[0:1]
	s_mov_b32 s3, exec_lo
	v_lshrrev_b32_e32 v2, 7, v1
	s_delay_alu instid0(VALU_DEP_1)
	v_cmpx_gt_i32_e64 s21, v2
	s_cbranch_execz .LBB76_30
; %bb.6:
	s_cmp_lt_i32 s22, 1
	s_cbranch_scc1 .LBB76_30
; %bb.7:
	s_load_b256 s[4:11], s[0:1], 0x28
	v_lshlrev_b32_e32 v2, 3, v2
	s_load_b128 s[12:15], s[0:1], 0x60
	v_lshrrev_b32_e32 v4, 6, v1
	s_cmp_lg_u32 s16, 1
	v_lshl_add_u32 v11, v0, 2, 0x180
	s_cselect_b32 s16, -1, 0
	s_cmp_eq_u32 s20, 0
	v_cmp_neq_f32_e64 s3, s24, 0
	s_waitcnt lgkmcnt(0)
	global_load_b128 v[5:8], v2, s[4:5]
	s_load_b64 s[4:5], s[0:1], 0x48
	v_mad_u64_u32 v[2:3], null, v4, s14, 0
	s_cselect_b32 s1, -1, 0
	s_delay_alu instid0(SALU_CYCLE_1) | instskip(SKIP_1) | instid1(VALU_DEP_2)
	v_cndmask_b32_e64 v17, 0, 1, s1
	s_and_b32 s1, s1, exec_lo
	v_mad_u64_u32 v[9:10], null, v4, s15, v[3:4]
	v_bfe_u32 v10, v1, 6, 1
	s_delay_alu instid0(VALU_DEP_1) | instskip(NEXT) | instid1(VALU_DEP_3)
	v_lshlrev_b32_e32 v17, v17, v10
	v_mov_b32_e32 v3, v9
	v_mul_u32_u24_e32 v9, 3, v0
	s_delay_alu instid0(VALU_DEP_2) | instskip(NEXT) | instid1(VALU_DEP_2)
	v_lshlrev_b64 v[1:2], 2, v[2:3]
	v_lshlrev_b32_e32 v12, 1, v9
	v_lshlrev_b32_e32 v9, 2, v4
	s_delay_alu instid0(VALU_DEP_3) | instskip(NEXT) | instid1(VALU_DEP_4)
	v_add_co_u32 v13, vcc_lo, s12, v1
	v_add_co_ci_u32_e32 v14, vcc_lo, s13, v2, vcc_lo
	s_delay_alu instid0(VALU_DEP_3) | instskip(NEXT) | instid1(VALU_DEP_1)
	v_add_co_u32 v15, s12, s12, v9
	v_add_co_ci_u32_e64 v16, null, s13, 0, s12
	s_mov_b32 s12, 0
	s_cselect_b32 s13, 1, 2
	s_waitcnt vmcnt(0)
	v_sub_co_u32 v1, vcc_lo, v5, s17
	v_subrev_co_ci_u32_e32 v2, vcc_lo, 0, v6, vcc_lo
	v_sub_co_u32 v3, vcc_lo, v7, s17
	v_cmp_lt_i64_e64 s0, v[5:6], v[7:8]
	v_subrev_co_ci_u32_e32 v4, vcc_lo, 0, v8, vcc_lo
	s_branch .LBB76_9
.LBB76_8:                               ;   in Loop: Header=BB76_9 Depth=1
	s_or_b32 exec_lo, exec_lo, s1
	s_add_i32 s12, s12, 64
	s_delay_alu instid0(SALU_CYCLE_1)
	s_cmp_lt_i32 s12, s22
	s_cbranch_scc0 .LBB76_30
.LBB76_9:                               ; =>This Loop Header: Depth=1
                                        ;     Child Loop BB76_12 Depth 2
                                        ;       Child Loop BB76_16 Depth 3
	v_or_b32_e32 v5, s12, v0
	v_mov_b32_e32 v18, 0
	s_delay_alu instid0(VALU_DEP_2)
	v_ashrrev_i32_e32 v6, 31, v5
	s_and_saveexec_b32 s18, s0
	s_cbranch_execz .LBB76_18
; %bb.10:                               ;   in Loop: Header=BB76_9 Depth=1
	s_delay_alu instid0(VALU_DEP_1) | instskip(SKIP_3) | instid1(VALU_DEP_3)
	v_lshlrev_b64 v[7:8], 1, v[5:6]
	v_cmp_gt_i32_e32 vcc_lo, s22, v5
	v_mov_b32_e32 v18, 0
	s_mov_b32 s19, 0
	v_add_co_u32 v19, s1, s10, v7
	s_delay_alu instid0(VALU_DEP_1)
	v_add_co_ci_u32_e64 v20, s1, s11, v8, s1
	v_dual_mov_b32 v8, v2 :: v_dual_mov_b32 v7, v1
	s_branch .LBB76_12
.LBB76_11:                              ;   in Loop: Header=BB76_12 Depth=2
	s_or_b32 exec_lo, exec_lo, s20
	v_add_co_u32 v7, s1, v7, 64
	s_delay_alu instid0(VALU_DEP_1) | instskip(NEXT) | instid1(VALU_DEP_1)
	v_add_co_ci_u32_e64 v8, s1, 0, v8, s1
	v_cmp_ge_i64_e64 s1, v[7:8], v[3:4]
	s_delay_alu instid0(VALU_DEP_1) | instskip(NEXT) | instid1(SALU_CYCLE_1)
	s_or_b32 s19, s1, s19
	s_and_not1_b32 exec_lo, exec_lo, s19
	s_cbranch_execz .LBB76_17
.LBB76_12:                              ;   Parent Loop BB76_9 Depth=1
                                        ; =>  This Loop Header: Depth=2
                                        ;       Child Loop BB76_16 Depth 3
	s_delay_alu instid0(VALU_DEP_1) | instskip(NEXT) | instid1(VALU_DEP_1)
	v_add_co_u32 v9, s1, v7, v0
	v_add_co_ci_u32_e64 v10, s1, 0, v8, s1
	v_dual_mov_b32 v22, 0 :: v_dual_mov_b32 v21, 0
	s_mov_b32 s20, exec_lo
	s_delay_alu instid0(VALU_DEP_2)
	v_cmpx_lt_i64_e64 v[9:10], v[3:4]
	s_cbranch_execz .LBB76_14
; %bb.13:                               ;   in Loop: Header=BB76_12 Depth=2
	v_lshlrev_b64 v[9:10], 2, v[9:10]
	s_delay_alu instid0(VALU_DEP_1) | instskip(NEXT) | instid1(VALU_DEP_2)
	v_or_b32_e32 v23, 0, v10
	v_or_b32_e32 v22, v9, v17
	s_delay_alu instid0(VALU_DEP_1) | instskip(SKIP_2) | instid1(VALU_DEP_3)
	v_lshlrev_b64 v[24:25], 1, v[22:23]
	v_or_b32_e32 v23, 0, v23
	v_or_b32_e32 v22, s13, v22
	v_add_co_u32 v24, s1, s8, v24
	s_delay_alu instid0(VALU_DEP_1) | instskip(SKIP_1) | instid1(VALU_DEP_1)
	v_add_co_ci_u32_e64 v25, s1, s9, v25, s1
	v_add_co_u32 v9, s1, s6, v9
	v_add_co_ci_u32_e64 v10, s1, s7, v10, s1
	global_load_u16 v21, v[24:25], off
	v_lshlrev_b64 v[22:23], 1, v[22:23]
	global_load_b32 v24, v[9:10], off
	v_add_co_u32 v9, s1, s8, v22
	s_delay_alu instid0(VALU_DEP_1) | instskip(SKIP_3) | instid1(VALU_DEP_1)
	v_add_co_ci_u32_e64 v10, s1, s9, v23, s1
	global_load_d16_hi_b16 v21, v[9:10], off
	s_waitcnt vmcnt(1)
	v_subrev_nc_u32_e32 v9, s17, v24
	v_lshlrev_b32_e32 v22, 1, v9
.LBB76_14:                              ;   in Loop: Header=BB76_12 Depth=2
	s_or_b32 exec_lo, exec_lo, s20
	ds_store_b32 v11, v22
	s_waitcnt vmcnt(0)
	ds_store_b32 v12, v21
	s_waitcnt lgkmcnt(0)
	s_waitcnt_vscnt null, 0x0
	s_barrier
	buffer_gl0_inv
	s_and_saveexec_b32 s20, vcc_lo
	s_cbranch_execz .LBB76_11
; %bb.15:                               ;   in Loop: Header=BB76_12 Depth=2
	v_mov_b32_e32 v9, 0
	s_mov_b32 s21, 0
.LBB76_16:                              ;   Parent Loop BB76_9 Depth=1
                                        ;     Parent Loop BB76_12 Depth=2
                                        ; =>    This Inner Loop Header: Depth=3
	s_delay_alu instid0(SALU_CYCLE_1) | instskip(SKIP_1) | instid1(SALU_CYCLE_1)
	v_add_nc_u32_e64 v10, 0x180, s21
	s_add_i32 s21, s21, 8
	s_cmpk_lg_i32 s21, 0x100
	ds_load_b64 v[21:22], v10
	s_waitcnt lgkmcnt(0)
	v_ashrrev_i32_e32 v10, 31, v21
	v_add_nc_u32_e32 v27, 1, v21
	v_mul_lo_u32 v29, v21, s5
	v_mad_u64_u32 v[23:24], null, v21, s4, 0
	v_ashrrev_i32_e32 v28, 31, v22
	v_add_nc_u32_e32 v31, 1, v22
	v_mul_lo_u32 v10, v10, s4
	v_ashrrev_i32_e32 v32, 31, v27
	v_mul_lo_u32 v30, v22, s5
	v_mad_u64_u32 v[25:26], null, v22, s4, 0
	v_mul_lo_u32 v33, v27, s5
	v_mad_u64_u32 v[21:22], null, v27, s4, 0
	v_mul_lo_u32 v34, v28, s4
	v_ashrrev_i32_e32 v35, 31, v31
	v_mul_lo_u32 v36, v31, s5
	v_mad_u64_u32 v[27:28], null, v31, s4, 0
	v_mul_lo_u32 v31, v32, s4
	v_add3_u32 v24, v24, v29, v10
	v_mul_lo_u32 v32, v35, s4
	v_add3_u32 v26, v26, v30, v34
	s_delay_alu instid0(VALU_DEP_3) | instskip(SKIP_1) | instid1(VALU_DEP_3)
	v_lshlrev_b64 v[23:24], 1, v[23:24]
	v_add3_u32 v22, v22, v33, v31
	v_lshlrev_b64 v[25:26], 1, v[25:26]
	v_add3_u32 v28, v28, v36, v32
	s_delay_alu instid0(VALU_DEP_4) | instskip(NEXT) | instid1(VALU_DEP_4)
	v_add_co_u32 v23, s1, v19, v23
	v_lshlrev_b64 v[21:22], 1, v[21:22]
	v_add_co_ci_u32_e64 v24, s1, v20, v24, s1
	s_delay_alu instid0(VALU_DEP_4) | instskip(NEXT) | instid1(VALU_DEP_3)
	v_lshlrev_b64 v[27:28], 1, v[27:28]
	v_add_co_u32 v21, s1, v19, v21
	global_load_u16 v10, v[23:24], off
	v_add_co_ci_u32_e64 v22, s1, v20, v22, s1
	v_add_co_u32 v23, s1, v19, v25
	s_delay_alu instid0(VALU_DEP_1) | instskip(SKIP_2) | instid1(VALU_DEP_1)
	v_add_co_ci_u32_e64 v24, s1, v20, v26, s1
	global_load_u16 v25, v[21:22], off
	v_add_co_u32 v21, s1, v19, v27
	v_add_co_ci_u32_e64 v22, s1, v20, v28, s1
	s_clause 0x1
	global_load_u16 v23, v[23:24], off
	global_load_u16 v21, v[21:22], off
	ds_load_b32 v22, v9
	ds_load_u16 v24, v9 offset:6
	ds_load_u16 v26, v9 offset:8
	v_add_nc_u32_e32 v9, 12, v9
	s_waitcnt vmcnt(3) lgkmcnt(2)
	v_fma_mix_f32 v10, v22, v10, v18 op_sel_hi:[1,1,0]
	s_waitcnt vmcnt(2)
	s_delay_alu instid0(VALU_DEP_1) | instskip(SKIP_1) | instid1(VALU_DEP_1)
	v_fma_mix_f32 v10, v22, v25, v10 op_sel:[1,0,0] op_sel_hi:[1,1,0]
	s_waitcnt vmcnt(1) lgkmcnt(1)
	v_fma_mix_f32 v10, v24, v23, v10 op_sel_hi:[1,1,0]
	s_waitcnt vmcnt(0) lgkmcnt(0)
	s_delay_alu instid0(VALU_DEP_1)
	v_fma_mix_f32 v18, v26, v21, v10 op_sel_hi:[1,1,0]
	s_cbranch_scc1 .LBB76_16
	s_branch .LBB76_11
.LBB76_17:                              ;   in Loop: Header=BB76_9 Depth=1
	s_or_b32 exec_lo, exec_lo, s19
.LBB76_18:                              ;   in Loop: Header=BB76_9 Depth=1
	s_delay_alu instid0(SALU_CYCLE_1) | instskip(NEXT) | instid1(SALU_CYCLE_1)
	s_or_b32 exec_lo, exec_lo, s18
	s_mov_b32 s1, exec_lo
	v_cmpx_gt_i32_e64 s22, v5
	s_cbranch_execz .LBB76_8
; %bb.19:                               ;   in Loop: Header=BB76_9 Depth=1
	s_and_b32 vcc_lo, exec_lo, s3
	s_cbranch_vccz .LBB76_25
; %bb.20:                               ;   in Loop: Header=BB76_9 Depth=1
	s_and_b32 vcc_lo, exec_lo, s16
	s_mov_b32 s18, -1
	s_cbranch_vccz .LBB76_22
; %bb.21:                               ;   in Loop: Header=BB76_9 Depth=1
	v_lshlrev_b64 v[7:8], 2, v[5:6]
	v_mul_f32_e32 v10, s2, v18
	s_mov_b32 s18, 0
	s_delay_alu instid0(VALU_DEP_2) | instskip(NEXT) | instid1(VALU_DEP_3)
	v_add_co_u32 v7, vcc_lo, v13, v7
	v_add_co_ci_u32_e32 v8, vcc_lo, v14, v8, vcc_lo
	global_load_b32 v9, v[7:8], off
	s_waitcnt vmcnt(0)
	v_fmac_f32_e32 v10, s24, v9
	global_store_b32 v[7:8], v10, off
.LBB76_22:                              ;   in Loop: Header=BB76_9 Depth=1
	s_and_not1_b32 vcc_lo, exec_lo, s18
	s_cbranch_vccnz .LBB76_24
; %bb.23:                               ;   in Loop: Header=BB76_9 Depth=1
	v_mul_lo_u32 v9, v6, s14
	v_mul_lo_u32 v10, v5, s15
	v_mad_u64_u32 v[7:8], null, v5, s14, 0
	s_delay_alu instid0(VALU_DEP_1) | instskip(SKIP_1) | instid1(VALU_DEP_2)
	v_add3_u32 v8, v8, v10, v9
	v_mul_f32_e32 v10, s2, v18
	v_lshlrev_b64 v[7:8], 2, v[7:8]
	s_delay_alu instid0(VALU_DEP_1) | instskip(NEXT) | instid1(VALU_DEP_2)
	v_add_co_u32 v7, vcc_lo, v15, v7
	v_add_co_ci_u32_e32 v8, vcc_lo, v16, v8, vcc_lo
	global_load_b32 v9, v[7:8], off
	s_waitcnt vmcnt(0)
	v_fmac_f32_e32 v10, s24, v9
	global_store_b32 v[7:8], v10, off
.LBB76_24:                              ;   in Loop: Header=BB76_9 Depth=1
	s_cbranch_execnz .LBB76_8
	s_branch .LBB76_26
.LBB76_25:                              ;   in Loop: Header=BB76_9 Depth=1
.LBB76_26:                              ;   in Loop: Header=BB76_9 Depth=1
	v_mul_f32_e32 v7, s2, v18
	s_and_b32 vcc_lo, exec_lo, s16
	s_mov_b32 s18, -1
	s_cbranch_vccz .LBB76_28
; %bb.27:                               ;   in Loop: Header=BB76_9 Depth=1
	v_lshlrev_b64 v[8:9], 2, v[5:6]
	s_mov_b32 s18, 0
	s_delay_alu instid0(VALU_DEP_1) | instskip(NEXT) | instid1(VALU_DEP_2)
	v_add_co_u32 v8, vcc_lo, v13, v8
	v_add_co_ci_u32_e32 v9, vcc_lo, v14, v9, vcc_lo
	global_store_b32 v[8:9], v7, off
.LBB76_28:                              ;   in Loop: Header=BB76_9 Depth=1
	s_and_not1_b32 vcc_lo, exec_lo, s18
	s_cbranch_vccnz .LBB76_8
; %bb.29:                               ;   in Loop: Header=BB76_9 Depth=1
	v_mul_lo_u32 v6, v6, s14
	v_mul_lo_u32 v10, v5, s15
	v_mad_u64_u32 v[8:9], null, v5, s14, 0
	s_delay_alu instid0(VALU_DEP_1) | instskip(NEXT) | instid1(VALU_DEP_1)
	v_add3_u32 v9, v9, v10, v6
	v_lshlrev_b64 v[5:6], 2, v[8:9]
	s_delay_alu instid0(VALU_DEP_1) | instskip(NEXT) | instid1(VALU_DEP_2)
	v_add_co_u32 v5, vcc_lo, v15, v5
	v_add_co_ci_u32_e32 v6, vcc_lo, v16, v6, vcc_lo
	global_store_b32 v[5:6], v7, off
	s_branch .LBB76_8
.LBB76_30:
	s_nop 0
	s_sendmsg sendmsg(MSG_DEALLOC_VGPRS)
	s_endpgm
	.section	.rodata,"a",@progbits
	.p2align	6, 0x0
	.amdhsa_kernel _ZN9rocsparseL29bsrmmnt_small_blockdim_kernelILj64ELj64ELj2EliDF16_DF16_ffEEv20rocsparse_direction_T3_S2_llNS_24const_host_device_scalarIT7_EEPKT2_PKS2_PKT4_PKT5_llS5_PT6_ll16rocsparse_order_21rocsparse_index_base_b
		.amdhsa_group_segment_fixed_size 640
		.amdhsa_private_segment_fixed_size 0
		.amdhsa_kernarg_size 392
		.amdhsa_user_sgpr_count 15
		.amdhsa_user_sgpr_dispatch_ptr 0
		.amdhsa_user_sgpr_queue_ptr 0
		.amdhsa_user_sgpr_kernarg_segment_ptr 1
		.amdhsa_user_sgpr_dispatch_id 0
		.amdhsa_user_sgpr_private_segment_size 0
		.amdhsa_wavefront_size32 1
		.amdhsa_uses_dynamic_stack 0
		.amdhsa_enable_private_segment 0
		.amdhsa_system_sgpr_workgroup_id_x 1
		.amdhsa_system_sgpr_workgroup_id_y 0
		.amdhsa_system_sgpr_workgroup_id_z 0
		.amdhsa_system_sgpr_workgroup_info 0
		.amdhsa_system_vgpr_workitem_id 0
		.amdhsa_next_free_vgpr 37
		.amdhsa_next_free_sgpr 26
		.amdhsa_reserve_vcc 1
		.amdhsa_float_round_mode_32 0
		.amdhsa_float_round_mode_16_64 0
		.amdhsa_float_denorm_mode_32 3
		.amdhsa_float_denorm_mode_16_64 3
		.amdhsa_dx10_clamp 1
		.amdhsa_ieee_mode 1
		.amdhsa_fp16_overflow 0
		.amdhsa_workgroup_processor_mode 1
		.amdhsa_memory_ordered 1
		.amdhsa_forward_progress 0
		.amdhsa_shared_vgpr_count 0
		.amdhsa_exception_fp_ieee_invalid_op 0
		.amdhsa_exception_fp_denorm_src 0
		.amdhsa_exception_fp_ieee_div_zero 0
		.amdhsa_exception_fp_ieee_overflow 0
		.amdhsa_exception_fp_ieee_underflow 0
		.amdhsa_exception_fp_ieee_inexact 0
		.amdhsa_exception_int_div_zero 0
	.end_amdhsa_kernel
	.section	.text._ZN9rocsparseL29bsrmmnt_small_blockdim_kernelILj64ELj64ELj2EliDF16_DF16_ffEEv20rocsparse_direction_T3_S2_llNS_24const_host_device_scalarIT7_EEPKT2_PKS2_PKT4_PKT5_llS5_PT6_ll16rocsparse_order_21rocsparse_index_base_b,"axG",@progbits,_ZN9rocsparseL29bsrmmnt_small_blockdim_kernelILj64ELj64ELj2EliDF16_DF16_ffEEv20rocsparse_direction_T3_S2_llNS_24const_host_device_scalarIT7_EEPKT2_PKS2_PKT4_PKT5_llS5_PT6_ll16rocsparse_order_21rocsparse_index_base_b,comdat
.Lfunc_end76:
	.size	_ZN9rocsparseL29bsrmmnt_small_blockdim_kernelILj64ELj64ELj2EliDF16_DF16_ffEEv20rocsparse_direction_T3_S2_llNS_24const_host_device_scalarIT7_EEPKT2_PKS2_PKT4_PKT5_llS5_PT6_ll16rocsparse_order_21rocsparse_index_base_b, .Lfunc_end76-_ZN9rocsparseL29bsrmmnt_small_blockdim_kernelILj64ELj64ELj2EliDF16_DF16_ffEEv20rocsparse_direction_T3_S2_llNS_24const_host_device_scalarIT7_EEPKT2_PKS2_PKT4_PKT5_llS5_PT6_ll16rocsparse_order_21rocsparse_index_base_b
                                        ; -- End function
	.section	.AMDGPU.csdata,"",@progbits
; Kernel info:
; codeLenInByte = 1608
; NumSgprs: 28
; NumVgprs: 37
; ScratchSize: 0
; MemoryBound: 0
; FloatMode: 240
; IeeeMode: 1
; LDSByteSize: 640 bytes/workgroup (compile time only)
; SGPRBlocks: 3
; VGPRBlocks: 4
; NumSGPRsForWavesPerEU: 28
; NumVGPRsForWavesPerEU: 37
; Occupancy: 16
; WaveLimiterHint : 0
; COMPUTE_PGM_RSRC2:SCRATCH_EN: 0
; COMPUTE_PGM_RSRC2:USER_SGPR: 15
; COMPUTE_PGM_RSRC2:TRAP_HANDLER: 0
; COMPUTE_PGM_RSRC2:TGID_X_EN: 1
; COMPUTE_PGM_RSRC2:TGID_Y_EN: 0
; COMPUTE_PGM_RSRC2:TGID_Z_EN: 0
; COMPUTE_PGM_RSRC2:TIDIG_COMP_CNT: 0
	.section	.text._ZN9rocsparseL29bsrmmnt_small_blockdim_kernelILj64ELj8ELj2EllDF16_DF16_ffEEv20rocsparse_direction_T3_S2_llNS_24const_host_device_scalarIT7_EEPKT2_PKS2_PKT4_PKT5_llS5_PT6_ll16rocsparse_order_21rocsparse_index_base_b,"axG",@progbits,_ZN9rocsparseL29bsrmmnt_small_blockdim_kernelILj64ELj8ELj2EllDF16_DF16_ffEEv20rocsparse_direction_T3_S2_llNS_24const_host_device_scalarIT7_EEPKT2_PKS2_PKT4_PKT5_llS5_PT6_ll16rocsparse_order_21rocsparse_index_base_b,comdat
	.globl	_ZN9rocsparseL29bsrmmnt_small_blockdim_kernelILj64ELj8ELj2EllDF16_DF16_ffEEv20rocsparse_direction_T3_S2_llNS_24const_host_device_scalarIT7_EEPKT2_PKS2_PKT4_PKT5_llS5_PT6_ll16rocsparse_order_21rocsparse_index_base_b ; -- Begin function _ZN9rocsparseL29bsrmmnt_small_blockdim_kernelILj64ELj8ELj2EllDF16_DF16_ffEEv20rocsparse_direction_T3_S2_llNS_24const_host_device_scalarIT7_EEPKT2_PKS2_PKT4_PKT5_llS5_PT6_ll16rocsparse_order_21rocsparse_index_base_b
	.p2align	8
	.type	_ZN9rocsparseL29bsrmmnt_small_blockdim_kernelILj64ELj8ELj2EllDF16_DF16_ffEEv20rocsparse_direction_T3_S2_llNS_24const_host_device_scalarIT7_EEPKT2_PKS2_PKT4_PKT5_llS5_PT6_ll16rocsparse_order_21rocsparse_index_base_b,@function
_ZN9rocsparseL29bsrmmnt_small_blockdim_kernelILj64ELj8ELj2EllDF16_DF16_ffEEv20rocsparse_direction_T3_S2_llNS_24const_host_device_scalarIT7_EEPKT2_PKS2_PKT4_PKT5_llS5_PT6_ll16rocsparse_order_21rocsparse_index_base_b: ; @_ZN9rocsparseL29bsrmmnt_small_blockdim_kernelILj64ELj8ELj2EllDF16_DF16_ffEEv20rocsparse_direction_T3_S2_llNS_24const_host_device_scalarIT7_EEPKT2_PKS2_PKT4_PKT5_llS5_PT6_ll16rocsparse_order_21rocsparse_index_base_b
; %bb.0:
	s_clause 0x2
	s_load_b128 s[20:23], s[0:1], 0x80
	s_load_b64 s[2:3], s[0:1], 0x28
	s_load_b64 s[24:25], s[0:1], 0x60
	s_waitcnt lgkmcnt(0)
	s_bitcmp1_b32 s22, 0
	s_cselect_b32 s4, -1, 0
	s_delay_alu instid0(SALU_CYCLE_1)
	s_and_b32 vcc_lo, exec_lo, s4
	s_xor_b32 s4, s4, -1
	s_cbranch_vccnz .LBB77_2
; %bb.1:
	s_load_b32 s2, s[2:3], 0x0
.LBB77_2:
	s_and_not1_b32 vcc_lo, exec_lo, s4
	s_cbranch_vccnz .LBB77_4
; %bb.3:
	s_load_b32 s24, s[24:25], 0x0
.LBB77_4:
	s_waitcnt lgkmcnt(0)
	v_cmp_eq_f32_e64 s3, s2, 0
	v_cmp_eq_f32_e64 s4, s24, 1.0
	s_delay_alu instid0(VALU_DEP_1) | instskip(NEXT) | instid1(SALU_CYCLE_1)
	s_and_b32 s3, s3, s4
	s_and_b32 vcc_lo, exec_lo, s3
	s_cbranch_vccnz .LBB77_30
; %bb.5:
	s_clause 0x1
	s_load_b32 s3, s[0:1], 0x9c
	s_load_b128 s[16:19], s[0:1], 0x8
	v_mov_b32_e32 v3, 0
	s_waitcnt lgkmcnt(0)
	s_and_b32 s3, s3, 0xffff
	s_delay_alu instid0(SALU_CYCLE_1) | instskip(SKIP_1) | instid1(VALU_DEP_1)
	v_mad_u64_u32 v[1:2], null, s15, s3, v[0:1]
	s_mov_b32 s3, exec_lo
	v_lshrrev_b32_e32 v2, 4, v1
	s_delay_alu instid0(VALU_DEP_1)
	v_cmpx_gt_i64_e64 s[16:17], v[2:3]
	s_cbranch_execz .LBB77_30
; %bb.6:
	v_cmp_lt_i64_e64 s3, s[18:19], 1
	s_delay_alu instid0(VALU_DEP_1)
	s_and_b32 vcc_lo, exec_lo, s3
	s_cbranch_vccnz .LBB77_30
; %bb.7:
	s_load_b256 s[4:11], s[0:1], 0x30
	v_lshlrev_b32_e32 v2, 3, v2
	s_load_b128 s[12:15], s[0:1], 0x68
	v_lshrrev_b32_e32 v12, 3, v1
	v_bfe_u32 v8, v1, 3, 1
	v_dual_mov_b32 v9, 0 :: v_dual_and_b32 v14, 7, v0
	s_cmp_lg_u32 s20, 1
	v_cmp_neq_f32_e64 s20, s24, 0
	s_cselect_b32 s22, -1, 0
	s_mov_b32 s3, s21
	s_waitcnt lgkmcnt(0)
	global_load_b128 v[4:7], v2, s[4:5]
	s_load_b64 s[4:5], s[0:1], 0x50
	v_mad_u64_u32 v[2:3], null, v12, s14, 0
	s_load_b32 s0, s[0:1], 0x0
	s_delay_alu instid0(VALU_DEP_1) | instskip(SKIP_1) | instid1(VALU_DEP_2)
	v_mov_b32_e32 v1, v3
	v_lshrrev_b32_e32 v3, 3, v0
	v_mad_u64_u32 v[10:11], null, v12, s15, v[1:2]
	s_delay_alu instid0(VALU_DEP_2) | instskip(SKIP_2) | instid1(VALU_DEP_3)
	v_mul_u32_u24_e32 v0, 48, v3
	v_lshlrev_b32_e32 v15, 6, v3
	v_mul_u32_u24_e32 v1, 3, v14
	v_or_b32_e32 v16, 0x200, v0
	v_dual_mov_b32 v3, v10 :: v_dual_lshlrev_b32 v10, 2, v12
	s_waitcnt lgkmcnt(0)
	s_cmp_eq_u32 s0, 0
	v_lshl_or_b32 v17, v14, 3, v15
	v_lshl_add_u32 v18, v1, 1, v16
	v_lshlrev_b64 v[0:1], 2, v[2:3]
	s_cselect_b32 s1, -1, 0
	v_add_co_u32 v19, s0, s12, v10
	v_cndmask_b32_e64 v10, 0, 1, s1
	v_add_co_ci_u32_e64 v20, null, s13, 0, s0
	s_delay_alu instid0(VALU_DEP_4)
	v_add_co_u32 v21, vcc_lo, s12, v0
	v_add_co_ci_u32_e32 v22, vcc_lo, s13, v1, vcc_lo
	s_and_b32 s1, s1, exec_lo
	s_mov_b64 s[12:13], 0
	s_waitcnt vmcnt(0)
	v_sub_co_u32 v0, vcc_lo, v4, s21
	v_subrev_co_ci_u32_e32 v1, vcc_lo, 0, v5, vcc_lo
	v_sub_co_u32 v2, vcc_lo, v6, s21
	v_cmp_lt_i64_e64 s0, v[4:5], v[6:7]
	v_lshlrev_b64 v[4:5], v10, v[8:9]
	v_subrev_co_ci_u32_e32 v3, vcc_lo, 0, v7, vcc_lo
	s_cselect_b32 s21, 1, 2
	s_lshl_b64 s[16:17], s[4:5], 1
	s_branch .LBB77_9
.LBB77_8:                               ;   in Loop: Header=BB77_9 Depth=1
	s_or_b32 exec_lo, exec_lo, s1
	s_add_u32 s12, s12, 8
	s_addc_u32 s13, s13, 0
	s_delay_alu instid0(SALU_CYCLE_1) | instskip(NEXT) | instid1(VALU_DEP_1)
	v_cmp_lt_i64_e64 s1, s[12:13], s[18:19]
	s_and_b32 vcc_lo, exec_lo, s1
	s_cbranch_vccz .LBB77_30
.LBB77_9:                               ; =>This Loop Header: Depth=1
                                        ;     Child Loop BB77_12 Depth 2
                                        ;       Child Loop BB77_16 Depth 3
	v_or_b32_e64 v7, s13, 0
	v_or_b32_e32 v6, s12, v14
	v_mov_b32_e32 v23, 0
	s_and_saveexec_b32 s23, s0
	s_cbranch_execz .LBB77_18
; %bb.10:                               ;   in Loop: Header=BB77_9 Depth=1
	s_delay_alu instid0(VALU_DEP_2) | instskip(SKIP_3) | instid1(VALU_DEP_3)
	v_lshlrev_b64 v[8:9], 1, v[6:7]
	v_cmp_gt_i64_e32 vcc_lo, s[18:19], v[6:7]
	v_mov_b32_e32 v23, 0
	s_mov_b32 s25, 0
	v_add_co_u32 v24, s1, s10, v8
	s_delay_alu instid0(VALU_DEP_1)
	v_add_co_ci_u32_e64 v25, s1, s11, v9, s1
	v_dual_mov_b32 v9, v1 :: v_dual_mov_b32 v8, v0
	s_branch .LBB77_12
.LBB77_11:                              ;   in Loop: Header=BB77_12 Depth=2
	s_or_b32 exec_lo, exec_lo, s26
	v_add_co_u32 v8, s1, v8, 8
	s_delay_alu instid0(VALU_DEP_1) | instskip(NEXT) | instid1(VALU_DEP_1)
	v_add_co_ci_u32_e64 v9, s1, 0, v9, s1
	v_cmp_ge_i64_e64 s1, v[8:9], v[2:3]
	s_delay_alu instid0(VALU_DEP_1) | instskip(NEXT) | instid1(SALU_CYCLE_1)
	s_or_b32 s25, s1, s25
	s_and_not1_b32 exec_lo, exec_lo, s25
	s_cbranch_execz .LBB77_17
.LBB77_12:                              ;   Parent Loop BB77_9 Depth=1
                                        ; =>  This Loop Header: Depth=2
                                        ;       Child Loop BB77_16 Depth 3
	s_delay_alu instid0(VALU_DEP_1) | instskip(SKIP_1) | instid1(VALU_DEP_3)
	v_add_co_u32 v10, s1, v8, v14
	v_mov_b32_e32 v12, 0
	v_add_co_ci_u32_e64 v11, s1, 0, v9, s1
	v_dual_mov_b32 v13, 0 :: v_dual_mov_b32 v26, 0
	s_mov_b32 s26, exec_lo
	s_delay_alu instid0(VALU_DEP_2)
	v_cmpx_lt_i64_e64 v[10:11], v[2:3]
	s_cbranch_execz .LBB77_14
; %bb.13:                               ;   in Loop: Header=BB77_12 Depth=2
	v_lshlrev_b64 v[12:13], 2, v[10:11]
	v_lshlrev_b64 v[10:11], 3, v[10:11]
	s_delay_alu instid0(VALU_DEP_2) | instskip(NEXT) | instid1(VALU_DEP_3)
	v_or_b32_e32 v13, v13, v5
	v_or_b32_e32 v12, v12, v4
	s_delay_alu instid0(VALU_DEP_1) | instskip(SKIP_2) | instid1(VALU_DEP_3)
	v_lshlrev_b64 v[26:27], 1, v[12:13]
	v_or_b32_e32 v13, 0, v13
	v_or_b32_e32 v12, s21, v12
	v_add_co_u32 v26, s1, s8, v26
	s_delay_alu instid0(VALU_DEP_1) | instskip(SKIP_1) | instid1(VALU_DEP_1)
	v_add_co_ci_u32_e64 v27, s1, s9, v27, s1
	v_add_co_u32 v10, s1, s6, v10
	v_add_co_ci_u32_e64 v11, s1, s7, v11, s1
	global_load_u16 v26, v[26:27], off
	v_lshlrev_b64 v[12:13], 1, v[12:13]
	global_load_b64 v[10:11], v[10:11], off
	v_add_co_u32 v12, s1, s8, v12
	s_delay_alu instid0(VALU_DEP_1) | instskip(SKIP_3) | instid1(VALU_DEP_1)
	v_add_co_ci_u32_e64 v13, s1, s9, v13, s1
	global_load_d16_hi_b16 v26, v[12:13], off
	s_waitcnt vmcnt(1)
	v_sub_co_u32 v10, s1, v10, s3
	v_subrev_co_ci_u32_e64 v11, s1, 0, v11, s1
	s_delay_alu instid0(VALU_DEP_1)
	v_lshlrev_b64 v[12:13], 1, v[10:11]
.LBB77_14:                              ;   in Loop: Header=BB77_12 Depth=2
	s_or_b32 exec_lo, exec_lo, s26
	ds_store_b64 v17, v[12:13]
	s_waitcnt vmcnt(0)
	ds_store_b32 v18, v26
	s_waitcnt lgkmcnt(0)
	s_waitcnt_vscnt null, 0x0
	s_barrier
	buffer_gl0_inv
	s_and_saveexec_b32 s26, vcc_lo
	s_cbranch_execz .LBB77_11
; %bb.15:                               ;   in Loop: Header=BB77_12 Depth=2
	v_mov_b32_e32 v10, v16
	s_mov_b32 s27, 0
.LBB77_16:                              ;   Parent Loop BB77_9 Depth=1
                                        ;     Parent Loop BB77_12 Depth=2
                                        ; =>    This Inner Loop Header: Depth=3
	s_delay_alu instid0(SALU_CYCLE_1) | instskip(SKIP_1) | instid1(SALU_CYCLE_1)
	v_add_nc_u32_e32 v11, s27, v15
	s_add_i32 s27, s27, 16
	s_cmp_lg_u32 s27, 64
	ds_load_b128 v[26:29], v11
	s_waitcnt lgkmcnt(0)
	v_mul_lo_u32 v13, v27, s4
	v_mul_lo_u32 v30, v26, s5
	v_mad_u64_u32 v[11:12], null, v26, s4, 0
	v_mul_lo_u32 v29, v29, s4
	v_mul_lo_u32 v31, v28, s5
	v_mad_u64_u32 v[26:27], null, v28, s4, 0
	s_delay_alu instid0(VALU_DEP_4) | instskip(NEXT) | instid1(VALU_DEP_2)
	v_add3_u32 v12, v12, v30, v13
	v_add3_u32 v27, v27, v31, v29
	s_delay_alu instid0(VALU_DEP_2) | instskip(NEXT) | instid1(VALU_DEP_2)
	v_lshlrev_b64 v[11:12], 1, v[11:12]
	v_lshlrev_b64 v[26:27], 1, v[26:27]
	s_delay_alu instid0(VALU_DEP_2) | instskip(NEXT) | instid1(VALU_DEP_1)
	v_add_co_u32 v11, s1, v24, v11
	v_add_co_ci_u32_e64 v12, s1, v25, v12, s1
	global_load_u16 v13, v[11:12], off
	v_add_co_u32 v11, s1, v11, s16
	s_delay_alu instid0(VALU_DEP_1) | instskip(SKIP_1) | instid1(VALU_DEP_1)
	v_add_co_ci_u32_e64 v12, s1, s17, v12, s1
	v_add_co_u32 v26, s1, v24, v26
	v_add_co_ci_u32_e64 v27, s1, v25, v27, s1
	global_load_u16 v28, v[11:12], off
	v_add_co_u32 v11, s1, v26, s16
	s_delay_alu instid0(VALU_DEP_1)
	v_add_co_ci_u32_e64 v12, s1, s17, v27, s1
	s_clause 0x1
	global_load_u16 v26, v[26:27], off
	global_load_u16 v11, v[11:12], off
	ds_load_b32 v12, v10
	ds_load_u16 v27, v10 offset:6
	ds_load_u16 v29, v10 offset:8
	v_add_nc_u32_e32 v10, 12, v10
	s_waitcnt vmcnt(3) lgkmcnt(2)
	v_fma_mix_f32 v13, v12, v13, v23 op_sel_hi:[1,1,0]
	s_waitcnt vmcnt(2)
	s_delay_alu instid0(VALU_DEP_1) | instskip(SKIP_1) | instid1(VALU_DEP_1)
	v_fma_mix_f32 v12, v12, v28, v13 op_sel:[1,0,0] op_sel_hi:[1,1,0]
	s_waitcnt vmcnt(1) lgkmcnt(1)
	v_fma_mix_f32 v12, v27, v26, v12 op_sel_hi:[1,1,0]
	s_waitcnt vmcnt(0) lgkmcnt(0)
	s_delay_alu instid0(VALU_DEP_1)
	v_fma_mix_f32 v23, v29, v11, v12 op_sel_hi:[1,1,0]
	s_cbranch_scc1 .LBB77_16
	s_branch .LBB77_11
.LBB77_17:                              ;   in Loop: Header=BB77_9 Depth=1
	s_or_b32 exec_lo, exec_lo, s25
.LBB77_18:                              ;   in Loop: Header=BB77_9 Depth=1
	s_delay_alu instid0(SALU_CYCLE_1) | instskip(NEXT) | instid1(SALU_CYCLE_1)
	s_or_b32 exec_lo, exec_lo, s23
	s_mov_b32 s1, exec_lo
	v_cmpx_gt_i64_e64 s[18:19], v[6:7]
	s_cbranch_execz .LBB77_8
; %bb.19:                               ;   in Loop: Header=BB77_9 Depth=1
	s_and_b32 vcc_lo, exec_lo, s20
	s_cbranch_vccz .LBB77_25
; %bb.20:                               ;   in Loop: Header=BB77_9 Depth=1
	s_and_b32 vcc_lo, exec_lo, s22
	s_mov_b32 s23, -1
	s_cbranch_vccz .LBB77_22
; %bb.21:                               ;   in Loop: Header=BB77_9 Depth=1
	v_lshlrev_b64 v[8:9], 2, v[6:7]
	v_mul_f32_e32 v11, s2, v23
	s_mov_b32 s23, 0
	s_delay_alu instid0(VALU_DEP_2) | instskip(NEXT) | instid1(VALU_DEP_3)
	v_add_co_u32 v8, vcc_lo, v21, v8
	v_add_co_ci_u32_e32 v9, vcc_lo, v22, v9, vcc_lo
	global_load_b32 v10, v[8:9], off
	s_waitcnt vmcnt(0)
	v_fmac_f32_e32 v11, s24, v10
	global_store_b32 v[8:9], v11, off
.LBB77_22:                              ;   in Loop: Header=BB77_9 Depth=1
	s_and_not1_b32 vcc_lo, exec_lo, s23
	s_cbranch_vccnz .LBB77_24
; %bb.23:                               ;   in Loop: Header=BB77_9 Depth=1
	v_mul_lo_u32 v10, v7, s14
	v_mul_lo_u32 v11, v6, s15
	v_mad_u64_u32 v[8:9], null, v6, s14, 0
	s_delay_alu instid0(VALU_DEP_1) | instskip(SKIP_1) | instid1(VALU_DEP_2)
	v_add3_u32 v9, v9, v11, v10
	v_mul_f32_e32 v11, s2, v23
	v_lshlrev_b64 v[8:9], 2, v[8:9]
	s_delay_alu instid0(VALU_DEP_1) | instskip(NEXT) | instid1(VALU_DEP_2)
	v_add_co_u32 v8, vcc_lo, v19, v8
	v_add_co_ci_u32_e32 v9, vcc_lo, v20, v9, vcc_lo
	global_load_b32 v10, v[8:9], off
	s_waitcnt vmcnt(0)
	v_fmac_f32_e32 v11, s24, v10
	global_store_b32 v[8:9], v11, off
.LBB77_24:                              ;   in Loop: Header=BB77_9 Depth=1
	s_cbranch_execnz .LBB77_8
	s_branch .LBB77_26
.LBB77_25:                              ;   in Loop: Header=BB77_9 Depth=1
.LBB77_26:                              ;   in Loop: Header=BB77_9 Depth=1
	v_mul_f32_e32 v8, s2, v23
	s_and_b32 vcc_lo, exec_lo, s22
	s_mov_b32 s23, -1
	s_cbranch_vccz .LBB77_28
; %bb.27:                               ;   in Loop: Header=BB77_9 Depth=1
	v_lshlrev_b64 v[9:10], 2, v[6:7]
	s_mov_b32 s23, 0
	s_delay_alu instid0(VALU_DEP_1) | instskip(NEXT) | instid1(VALU_DEP_2)
	v_add_co_u32 v9, vcc_lo, v21, v9
	v_add_co_ci_u32_e32 v10, vcc_lo, v22, v10, vcc_lo
	global_store_b32 v[9:10], v8, off
.LBB77_28:                              ;   in Loop: Header=BB77_9 Depth=1
	s_and_not1_b32 vcc_lo, exec_lo, s23
	s_cbranch_vccnz .LBB77_8
; %bb.29:                               ;   in Loop: Header=BB77_9 Depth=1
	v_mul_lo_u32 v7, v7, s14
	v_mul_lo_u32 v11, v6, s15
	v_mad_u64_u32 v[9:10], null, v6, s14, 0
	s_delay_alu instid0(VALU_DEP_1) | instskip(NEXT) | instid1(VALU_DEP_1)
	v_add3_u32 v10, v10, v11, v7
	v_lshlrev_b64 v[6:7], 2, v[9:10]
	s_delay_alu instid0(VALU_DEP_1) | instskip(NEXT) | instid1(VALU_DEP_2)
	v_add_co_u32 v6, vcc_lo, v19, v6
	v_add_co_ci_u32_e32 v7, vcc_lo, v20, v7, vcc_lo
	global_store_b32 v[6:7], v8, off
	s_branch .LBB77_8
.LBB77_30:
	s_nop 0
	s_sendmsg sendmsg(MSG_DEALLOC_VGPRS)
	s_endpgm
	.section	.rodata,"a",@progbits
	.p2align	6, 0x0
	.amdhsa_kernel _ZN9rocsparseL29bsrmmnt_small_blockdim_kernelILj64ELj8ELj2EllDF16_DF16_ffEEv20rocsparse_direction_T3_S2_llNS_24const_host_device_scalarIT7_EEPKT2_PKS2_PKT4_PKT5_llS5_PT6_ll16rocsparse_order_21rocsparse_index_base_b
		.amdhsa_group_segment_fixed_size 896
		.amdhsa_private_segment_fixed_size 0
		.amdhsa_kernarg_size 400
		.amdhsa_user_sgpr_count 15
		.amdhsa_user_sgpr_dispatch_ptr 0
		.amdhsa_user_sgpr_queue_ptr 0
		.amdhsa_user_sgpr_kernarg_segment_ptr 1
		.amdhsa_user_sgpr_dispatch_id 0
		.amdhsa_user_sgpr_private_segment_size 0
		.amdhsa_wavefront_size32 1
		.amdhsa_uses_dynamic_stack 0
		.amdhsa_enable_private_segment 0
		.amdhsa_system_sgpr_workgroup_id_x 1
		.amdhsa_system_sgpr_workgroup_id_y 0
		.amdhsa_system_sgpr_workgroup_id_z 0
		.amdhsa_system_sgpr_workgroup_info 0
		.amdhsa_system_vgpr_workitem_id 0
		.amdhsa_next_free_vgpr 32
		.amdhsa_next_free_sgpr 28
		.amdhsa_reserve_vcc 1
		.amdhsa_float_round_mode_32 0
		.amdhsa_float_round_mode_16_64 0
		.amdhsa_float_denorm_mode_32 3
		.amdhsa_float_denorm_mode_16_64 3
		.amdhsa_dx10_clamp 1
		.amdhsa_ieee_mode 1
		.amdhsa_fp16_overflow 0
		.amdhsa_workgroup_processor_mode 1
		.amdhsa_memory_ordered 1
		.amdhsa_forward_progress 0
		.amdhsa_shared_vgpr_count 0
		.amdhsa_exception_fp_ieee_invalid_op 0
		.amdhsa_exception_fp_denorm_src 0
		.amdhsa_exception_fp_ieee_div_zero 0
		.amdhsa_exception_fp_ieee_overflow 0
		.amdhsa_exception_fp_ieee_underflow 0
		.amdhsa_exception_fp_ieee_inexact 0
		.amdhsa_exception_int_div_zero 0
	.end_amdhsa_kernel
	.section	.text._ZN9rocsparseL29bsrmmnt_small_blockdim_kernelILj64ELj8ELj2EllDF16_DF16_ffEEv20rocsparse_direction_T3_S2_llNS_24const_host_device_scalarIT7_EEPKT2_PKS2_PKT4_PKT5_llS5_PT6_ll16rocsparse_order_21rocsparse_index_base_b,"axG",@progbits,_ZN9rocsparseL29bsrmmnt_small_blockdim_kernelILj64ELj8ELj2EllDF16_DF16_ffEEv20rocsparse_direction_T3_S2_llNS_24const_host_device_scalarIT7_EEPKT2_PKS2_PKT4_PKT5_llS5_PT6_ll16rocsparse_order_21rocsparse_index_base_b,comdat
.Lfunc_end77:
	.size	_ZN9rocsparseL29bsrmmnt_small_blockdim_kernelILj64ELj8ELj2EllDF16_DF16_ffEEv20rocsparse_direction_T3_S2_llNS_24const_host_device_scalarIT7_EEPKT2_PKS2_PKT4_PKT5_llS5_PT6_ll16rocsparse_order_21rocsparse_index_base_b, .Lfunc_end77-_ZN9rocsparseL29bsrmmnt_small_blockdim_kernelILj64ELj8ELj2EllDF16_DF16_ffEEv20rocsparse_direction_T3_S2_llNS_24const_host_device_scalarIT7_EEPKT2_PKS2_PKT4_PKT5_llS5_PT6_ll16rocsparse_order_21rocsparse_index_base_b
                                        ; -- End function
	.section	.AMDGPU.csdata,"",@progbits
; Kernel info:
; codeLenInByte = 1608
; NumSgprs: 30
; NumVgprs: 32
; ScratchSize: 0
; MemoryBound: 0
; FloatMode: 240
; IeeeMode: 1
; LDSByteSize: 896 bytes/workgroup (compile time only)
; SGPRBlocks: 3
; VGPRBlocks: 3
; NumSGPRsForWavesPerEU: 30
; NumVGPRsForWavesPerEU: 32
; Occupancy: 16
; WaveLimiterHint : 1
; COMPUTE_PGM_RSRC2:SCRATCH_EN: 0
; COMPUTE_PGM_RSRC2:USER_SGPR: 15
; COMPUTE_PGM_RSRC2:TRAP_HANDLER: 0
; COMPUTE_PGM_RSRC2:TGID_X_EN: 1
; COMPUTE_PGM_RSRC2:TGID_Y_EN: 0
; COMPUTE_PGM_RSRC2:TGID_Z_EN: 0
; COMPUTE_PGM_RSRC2:TIDIG_COMP_CNT: 0
	.section	.text._ZN9rocsparseL29bsrmmnt_small_blockdim_kernelILj64ELj16ELj2EllDF16_DF16_ffEEv20rocsparse_direction_T3_S2_llNS_24const_host_device_scalarIT7_EEPKT2_PKS2_PKT4_PKT5_llS5_PT6_ll16rocsparse_order_21rocsparse_index_base_b,"axG",@progbits,_ZN9rocsparseL29bsrmmnt_small_blockdim_kernelILj64ELj16ELj2EllDF16_DF16_ffEEv20rocsparse_direction_T3_S2_llNS_24const_host_device_scalarIT7_EEPKT2_PKS2_PKT4_PKT5_llS5_PT6_ll16rocsparse_order_21rocsparse_index_base_b,comdat
	.globl	_ZN9rocsparseL29bsrmmnt_small_blockdim_kernelILj64ELj16ELj2EllDF16_DF16_ffEEv20rocsparse_direction_T3_S2_llNS_24const_host_device_scalarIT7_EEPKT2_PKS2_PKT4_PKT5_llS5_PT6_ll16rocsparse_order_21rocsparse_index_base_b ; -- Begin function _ZN9rocsparseL29bsrmmnt_small_blockdim_kernelILj64ELj16ELj2EllDF16_DF16_ffEEv20rocsparse_direction_T3_S2_llNS_24const_host_device_scalarIT7_EEPKT2_PKS2_PKT4_PKT5_llS5_PT6_ll16rocsparse_order_21rocsparse_index_base_b
	.p2align	8
	.type	_ZN9rocsparseL29bsrmmnt_small_blockdim_kernelILj64ELj16ELj2EllDF16_DF16_ffEEv20rocsparse_direction_T3_S2_llNS_24const_host_device_scalarIT7_EEPKT2_PKS2_PKT4_PKT5_llS5_PT6_ll16rocsparse_order_21rocsparse_index_base_b,@function
_ZN9rocsparseL29bsrmmnt_small_blockdim_kernelILj64ELj16ELj2EllDF16_DF16_ffEEv20rocsparse_direction_T3_S2_llNS_24const_host_device_scalarIT7_EEPKT2_PKS2_PKT4_PKT5_llS5_PT6_ll16rocsparse_order_21rocsparse_index_base_b: ; @_ZN9rocsparseL29bsrmmnt_small_blockdim_kernelILj64ELj16ELj2EllDF16_DF16_ffEEv20rocsparse_direction_T3_S2_llNS_24const_host_device_scalarIT7_EEPKT2_PKS2_PKT4_PKT5_llS5_PT6_ll16rocsparse_order_21rocsparse_index_base_b
; %bb.0:
	s_clause 0x2
	s_load_b128 s[20:23], s[0:1], 0x80
	s_load_b64 s[2:3], s[0:1], 0x28
	s_load_b64 s[24:25], s[0:1], 0x60
	s_waitcnt lgkmcnt(0)
	s_bitcmp1_b32 s22, 0
	s_cselect_b32 s4, -1, 0
	s_delay_alu instid0(SALU_CYCLE_1)
	s_and_b32 vcc_lo, exec_lo, s4
	s_xor_b32 s4, s4, -1
	s_cbranch_vccnz .LBB78_2
; %bb.1:
	s_load_b32 s2, s[2:3], 0x0
.LBB78_2:
	s_and_not1_b32 vcc_lo, exec_lo, s4
	s_cbranch_vccnz .LBB78_4
; %bb.3:
	s_load_b32 s24, s[24:25], 0x0
.LBB78_4:
	s_waitcnt lgkmcnt(0)
	v_cmp_eq_f32_e64 s3, s2, 0
	v_cmp_eq_f32_e64 s4, s24, 1.0
	s_delay_alu instid0(VALU_DEP_1) | instskip(NEXT) | instid1(SALU_CYCLE_1)
	s_and_b32 s3, s3, s4
	s_and_b32 vcc_lo, exec_lo, s3
	s_cbranch_vccnz .LBB78_30
; %bb.5:
	s_clause 0x1
	s_load_b32 s3, s[0:1], 0x9c
	s_load_b128 s[16:19], s[0:1], 0x8
	v_mov_b32_e32 v3, 0
	s_waitcnt lgkmcnt(0)
	s_and_b32 s3, s3, 0xffff
	s_delay_alu instid0(SALU_CYCLE_1) | instskip(SKIP_1) | instid1(VALU_DEP_1)
	v_mad_u64_u32 v[1:2], null, s15, s3, v[0:1]
	s_mov_b32 s3, exec_lo
	v_lshrrev_b32_e32 v2, 5, v1
	s_delay_alu instid0(VALU_DEP_1)
	v_cmpx_gt_i64_e64 s[16:17], v[2:3]
	s_cbranch_execz .LBB78_30
; %bb.6:
	v_cmp_lt_i64_e64 s3, s[18:19], 1
	s_delay_alu instid0(VALU_DEP_1)
	s_and_b32 vcc_lo, exec_lo, s3
	s_cbranch_vccnz .LBB78_30
; %bb.7:
	s_load_b256 s[4:11], s[0:1], 0x30
	v_lshlrev_b32_e32 v2, 3, v2
	s_load_b128 s[12:15], s[0:1], 0x68
	v_lshrrev_b32_e32 v12, 4, v1
	v_bfe_u32 v8, v1, 4, 1
	v_dual_mov_b32 v9, 0 :: v_dual_and_b32 v14, 15, v0
	s_cmp_lg_u32 s20, 1
	v_cmp_neq_f32_e64 s20, s24, 0
	s_cselect_b32 s22, -1, 0
	s_mov_b32 s3, s21
	s_waitcnt lgkmcnt(0)
	global_load_b128 v[4:7], v2, s[4:5]
	s_load_b64 s[4:5], s[0:1], 0x50
	v_mad_u64_u32 v[2:3], null, v12, s14, 0
	s_load_b32 s0, s[0:1], 0x0
	s_delay_alu instid0(VALU_DEP_1) | instskip(SKIP_1) | instid1(VALU_DEP_2)
	v_mov_b32_e32 v1, v3
	v_lshrrev_b32_e32 v3, 4, v0
	v_mad_u64_u32 v[10:11], null, v12, s15, v[1:2]
	s_delay_alu instid0(VALU_DEP_2) | instskip(SKIP_2) | instid1(VALU_DEP_3)
	v_mul_u32_u24_e32 v0, 0x60, v3
	v_lshlrev_b32_e32 v15, 7, v3
	v_mul_u32_u24_e32 v1, 3, v14
	v_or_b32_e32 v16, 0x200, v0
	v_dual_mov_b32 v3, v10 :: v_dual_lshlrev_b32 v10, 2, v12
	s_waitcnt lgkmcnt(0)
	s_cmp_eq_u32 s0, 0
	v_lshl_or_b32 v17, v14, 3, v15
	v_lshl_add_u32 v18, v1, 1, v16
	v_lshlrev_b64 v[0:1], 2, v[2:3]
	s_cselect_b32 s1, -1, 0
	v_add_co_u32 v19, s0, s12, v10
	v_cndmask_b32_e64 v10, 0, 1, s1
	v_add_co_ci_u32_e64 v20, null, s13, 0, s0
	s_delay_alu instid0(VALU_DEP_4)
	v_add_co_u32 v21, vcc_lo, s12, v0
	v_add_co_ci_u32_e32 v22, vcc_lo, s13, v1, vcc_lo
	s_and_b32 s1, s1, exec_lo
	s_mov_b64 s[12:13], 0
	s_waitcnt vmcnt(0)
	v_sub_co_u32 v0, vcc_lo, v4, s21
	v_subrev_co_ci_u32_e32 v1, vcc_lo, 0, v5, vcc_lo
	v_sub_co_u32 v2, vcc_lo, v6, s21
	v_cmp_lt_i64_e64 s0, v[4:5], v[6:7]
	v_lshlrev_b64 v[4:5], v10, v[8:9]
	v_subrev_co_ci_u32_e32 v3, vcc_lo, 0, v7, vcc_lo
	s_cselect_b32 s21, 1, 2
	s_lshl_b64 s[16:17], s[4:5], 1
	s_branch .LBB78_9
.LBB78_8:                               ;   in Loop: Header=BB78_9 Depth=1
	s_or_b32 exec_lo, exec_lo, s1
	s_add_u32 s12, s12, 16
	s_addc_u32 s13, s13, 0
	s_delay_alu instid0(SALU_CYCLE_1) | instskip(NEXT) | instid1(VALU_DEP_1)
	v_cmp_lt_i64_e64 s1, s[12:13], s[18:19]
	s_and_b32 vcc_lo, exec_lo, s1
	s_cbranch_vccz .LBB78_30
.LBB78_9:                               ; =>This Loop Header: Depth=1
                                        ;     Child Loop BB78_12 Depth 2
                                        ;       Child Loop BB78_16 Depth 3
	v_or_b32_e64 v7, s13, 0
	v_or_b32_e32 v6, s12, v14
	v_mov_b32_e32 v23, 0
	s_and_saveexec_b32 s23, s0
	s_cbranch_execz .LBB78_18
; %bb.10:                               ;   in Loop: Header=BB78_9 Depth=1
	s_delay_alu instid0(VALU_DEP_2) | instskip(SKIP_3) | instid1(VALU_DEP_3)
	v_lshlrev_b64 v[8:9], 1, v[6:7]
	v_cmp_gt_i64_e32 vcc_lo, s[18:19], v[6:7]
	v_mov_b32_e32 v23, 0
	s_mov_b32 s25, 0
	v_add_co_u32 v24, s1, s10, v8
	s_delay_alu instid0(VALU_DEP_1)
	v_add_co_ci_u32_e64 v25, s1, s11, v9, s1
	v_dual_mov_b32 v9, v1 :: v_dual_mov_b32 v8, v0
	s_branch .LBB78_12
.LBB78_11:                              ;   in Loop: Header=BB78_12 Depth=2
	s_or_b32 exec_lo, exec_lo, s26
	v_add_co_u32 v8, s1, v8, 16
	s_delay_alu instid0(VALU_DEP_1) | instskip(NEXT) | instid1(VALU_DEP_1)
	v_add_co_ci_u32_e64 v9, s1, 0, v9, s1
	v_cmp_ge_i64_e64 s1, v[8:9], v[2:3]
	s_delay_alu instid0(VALU_DEP_1) | instskip(NEXT) | instid1(SALU_CYCLE_1)
	s_or_b32 s25, s1, s25
	s_and_not1_b32 exec_lo, exec_lo, s25
	s_cbranch_execz .LBB78_17
.LBB78_12:                              ;   Parent Loop BB78_9 Depth=1
                                        ; =>  This Loop Header: Depth=2
                                        ;       Child Loop BB78_16 Depth 3
	s_delay_alu instid0(VALU_DEP_1) | instskip(SKIP_1) | instid1(VALU_DEP_3)
	v_add_co_u32 v10, s1, v8, v14
	v_mov_b32_e32 v12, 0
	v_add_co_ci_u32_e64 v11, s1, 0, v9, s1
	v_dual_mov_b32 v13, 0 :: v_dual_mov_b32 v26, 0
	s_mov_b32 s26, exec_lo
	s_delay_alu instid0(VALU_DEP_2)
	v_cmpx_lt_i64_e64 v[10:11], v[2:3]
	s_cbranch_execz .LBB78_14
; %bb.13:                               ;   in Loop: Header=BB78_12 Depth=2
	v_lshlrev_b64 v[12:13], 2, v[10:11]
	v_lshlrev_b64 v[10:11], 3, v[10:11]
	s_delay_alu instid0(VALU_DEP_2) | instskip(NEXT) | instid1(VALU_DEP_3)
	v_or_b32_e32 v13, v13, v5
	v_or_b32_e32 v12, v12, v4
	s_delay_alu instid0(VALU_DEP_1) | instskip(SKIP_2) | instid1(VALU_DEP_3)
	v_lshlrev_b64 v[26:27], 1, v[12:13]
	v_or_b32_e32 v13, 0, v13
	v_or_b32_e32 v12, s21, v12
	v_add_co_u32 v26, s1, s8, v26
	s_delay_alu instid0(VALU_DEP_1) | instskip(SKIP_1) | instid1(VALU_DEP_1)
	v_add_co_ci_u32_e64 v27, s1, s9, v27, s1
	v_add_co_u32 v10, s1, s6, v10
	v_add_co_ci_u32_e64 v11, s1, s7, v11, s1
	global_load_u16 v26, v[26:27], off
	v_lshlrev_b64 v[12:13], 1, v[12:13]
	global_load_b64 v[10:11], v[10:11], off
	v_add_co_u32 v12, s1, s8, v12
	s_delay_alu instid0(VALU_DEP_1) | instskip(SKIP_3) | instid1(VALU_DEP_1)
	v_add_co_ci_u32_e64 v13, s1, s9, v13, s1
	global_load_d16_hi_b16 v26, v[12:13], off
	s_waitcnt vmcnt(1)
	v_sub_co_u32 v10, s1, v10, s3
	v_subrev_co_ci_u32_e64 v11, s1, 0, v11, s1
	s_delay_alu instid0(VALU_DEP_1)
	v_lshlrev_b64 v[12:13], 1, v[10:11]
.LBB78_14:                              ;   in Loop: Header=BB78_12 Depth=2
	s_or_b32 exec_lo, exec_lo, s26
	ds_store_b64 v17, v[12:13]
	s_waitcnt vmcnt(0)
	ds_store_b32 v18, v26
	s_waitcnt lgkmcnt(0)
	s_waitcnt_vscnt null, 0x0
	s_barrier
	buffer_gl0_inv
	s_and_saveexec_b32 s26, vcc_lo
	s_cbranch_execz .LBB78_11
; %bb.15:                               ;   in Loop: Header=BB78_12 Depth=2
	v_mov_b32_e32 v10, v16
	s_mov_b32 s27, 0
.LBB78_16:                              ;   Parent Loop BB78_9 Depth=1
                                        ;     Parent Loop BB78_12 Depth=2
                                        ; =>    This Inner Loop Header: Depth=3
	s_delay_alu instid0(SALU_CYCLE_1) | instskip(SKIP_1) | instid1(SALU_CYCLE_1)
	v_add_nc_u32_e32 v11, s27, v15
	s_add_i32 s27, s27, 16
	s_cmpk_lg_i32 s27, 0x80
	ds_load_b128 v[26:29], v11
	s_waitcnt lgkmcnt(0)
	v_mul_lo_u32 v13, v27, s4
	v_mul_lo_u32 v30, v26, s5
	v_mad_u64_u32 v[11:12], null, v26, s4, 0
	v_mul_lo_u32 v29, v29, s4
	v_mul_lo_u32 v31, v28, s5
	v_mad_u64_u32 v[26:27], null, v28, s4, 0
	s_delay_alu instid0(VALU_DEP_4) | instskip(NEXT) | instid1(VALU_DEP_2)
	v_add3_u32 v12, v12, v30, v13
	v_add3_u32 v27, v27, v31, v29
	s_delay_alu instid0(VALU_DEP_2) | instskip(NEXT) | instid1(VALU_DEP_2)
	v_lshlrev_b64 v[11:12], 1, v[11:12]
	v_lshlrev_b64 v[26:27], 1, v[26:27]
	s_delay_alu instid0(VALU_DEP_2) | instskip(NEXT) | instid1(VALU_DEP_1)
	v_add_co_u32 v11, s1, v24, v11
	v_add_co_ci_u32_e64 v12, s1, v25, v12, s1
	global_load_u16 v13, v[11:12], off
	v_add_co_u32 v11, s1, v11, s16
	s_delay_alu instid0(VALU_DEP_1) | instskip(SKIP_1) | instid1(VALU_DEP_1)
	v_add_co_ci_u32_e64 v12, s1, s17, v12, s1
	v_add_co_u32 v26, s1, v24, v26
	v_add_co_ci_u32_e64 v27, s1, v25, v27, s1
	global_load_u16 v28, v[11:12], off
	v_add_co_u32 v11, s1, v26, s16
	s_delay_alu instid0(VALU_DEP_1)
	v_add_co_ci_u32_e64 v12, s1, s17, v27, s1
	s_clause 0x1
	global_load_u16 v26, v[26:27], off
	global_load_u16 v11, v[11:12], off
	ds_load_b32 v12, v10
	ds_load_u16 v27, v10 offset:6
	ds_load_u16 v29, v10 offset:8
	v_add_nc_u32_e32 v10, 12, v10
	s_waitcnt vmcnt(3) lgkmcnt(2)
	v_fma_mix_f32 v13, v12, v13, v23 op_sel_hi:[1,1,0]
	s_waitcnt vmcnt(2)
	s_delay_alu instid0(VALU_DEP_1) | instskip(SKIP_1) | instid1(VALU_DEP_1)
	v_fma_mix_f32 v12, v12, v28, v13 op_sel:[1,0,0] op_sel_hi:[1,1,0]
	s_waitcnt vmcnt(1) lgkmcnt(1)
	v_fma_mix_f32 v12, v27, v26, v12 op_sel_hi:[1,1,0]
	s_waitcnt vmcnt(0) lgkmcnt(0)
	s_delay_alu instid0(VALU_DEP_1)
	v_fma_mix_f32 v23, v29, v11, v12 op_sel_hi:[1,1,0]
	s_cbranch_scc1 .LBB78_16
	s_branch .LBB78_11
.LBB78_17:                              ;   in Loop: Header=BB78_9 Depth=1
	s_or_b32 exec_lo, exec_lo, s25
.LBB78_18:                              ;   in Loop: Header=BB78_9 Depth=1
	s_delay_alu instid0(SALU_CYCLE_1) | instskip(NEXT) | instid1(SALU_CYCLE_1)
	s_or_b32 exec_lo, exec_lo, s23
	s_mov_b32 s1, exec_lo
	v_cmpx_gt_i64_e64 s[18:19], v[6:7]
	s_cbranch_execz .LBB78_8
; %bb.19:                               ;   in Loop: Header=BB78_9 Depth=1
	s_and_b32 vcc_lo, exec_lo, s20
	s_cbranch_vccz .LBB78_25
; %bb.20:                               ;   in Loop: Header=BB78_9 Depth=1
	s_and_b32 vcc_lo, exec_lo, s22
	s_mov_b32 s23, -1
	s_cbranch_vccz .LBB78_22
; %bb.21:                               ;   in Loop: Header=BB78_9 Depth=1
	v_lshlrev_b64 v[8:9], 2, v[6:7]
	v_mul_f32_e32 v11, s2, v23
	s_mov_b32 s23, 0
	s_delay_alu instid0(VALU_DEP_2) | instskip(NEXT) | instid1(VALU_DEP_3)
	v_add_co_u32 v8, vcc_lo, v21, v8
	v_add_co_ci_u32_e32 v9, vcc_lo, v22, v9, vcc_lo
	global_load_b32 v10, v[8:9], off
	s_waitcnt vmcnt(0)
	v_fmac_f32_e32 v11, s24, v10
	global_store_b32 v[8:9], v11, off
.LBB78_22:                              ;   in Loop: Header=BB78_9 Depth=1
	s_and_not1_b32 vcc_lo, exec_lo, s23
	s_cbranch_vccnz .LBB78_24
; %bb.23:                               ;   in Loop: Header=BB78_9 Depth=1
	v_mul_lo_u32 v10, v7, s14
	v_mul_lo_u32 v11, v6, s15
	v_mad_u64_u32 v[8:9], null, v6, s14, 0
	s_delay_alu instid0(VALU_DEP_1) | instskip(SKIP_1) | instid1(VALU_DEP_2)
	v_add3_u32 v9, v9, v11, v10
	v_mul_f32_e32 v11, s2, v23
	v_lshlrev_b64 v[8:9], 2, v[8:9]
	s_delay_alu instid0(VALU_DEP_1) | instskip(NEXT) | instid1(VALU_DEP_2)
	v_add_co_u32 v8, vcc_lo, v19, v8
	v_add_co_ci_u32_e32 v9, vcc_lo, v20, v9, vcc_lo
	global_load_b32 v10, v[8:9], off
	s_waitcnt vmcnt(0)
	v_fmac_f32_e32 v11, s24, v10
	global_store_b32 v[8:9], v11, off
.LBB78_24:                              ;   in Loop: Header=BB78_9 Depth=1
	s_cbranch_execnz .LBB78_8
	s_branch .LBB78_26
.LBB78_25:                              ;   in Loop: Header=BB78_9 Depth=1
.LBB78_26:                              ;   in Loop: Header=BB78_9 Depth=1
	v_mul_f32_e32 v8, s2, v23
	s_and_b32 vcc_lo, exec_lo, s22
	s_mov_b32 s23, -1
	s_cbranch_vccz .LBB78_28
; %bb.27:                               ;   in Loop: Header=BB78_9 Depth=1
	v_lshlrev_b64 v[9:10], 2, v[6:7]
	s_mov_b32 s23, 0
	s_delay_alu instid0(VALU_DEP_1) | instskip(NEXT) | instid1(VALU_DEP_2)
	v_add_co_u32 v9, vcc_lo, v21, v9
	v_add_co_ci_u32_e32 v10, vcc_lo, v22, v10, vcc_lo
	global_store_b32 v[9:10], v8, off
.LBB78_28:                              ;   in Loop: Header=BB78_9 Depth=1
	s_and_not1_b32 vcc_lo, exec_lo, s23
	s_cbranch_vccnz .LBB78_8
; %bb.29:                               ;   in Loop: Header=BB78_9 Depth=1
	v_mul_lo_u32 v7, v7, s14
	v_mul_lo_u32 v11, v6, s15
	v_mad_u64_u32 v[9:10], null, v6, s14, 0
	s_delay_alu instid0(VALU_DEP_1) | instskip(NEXT) | instid1(VALU_DEP_1)
	v_add3_u32 v10, v10, v11, v7
	v_lshlrev_b64 v[6:7], 2, v[9:10]
	s_delay_alu instid0(VALU_DEP_1) | instskip(NEXT) | instid1(VALU_DEP_2)
	v_add_co_u32 v6, vcc_lo, v19, v6
	v_add_co_ci_u32_e32 v7, vcc_lo, v20, v7, vcc_lo
	global_store_b32 v[6:7], v8, off
	s_branch .LBB78_8
.LBB78_30:
	s_nop 0
	s_sendmsg sendmsg(MSG_DEALLOC_VGPRS)
	s_endpgm
	.section	.rodata,"a",@progbits
	.p2align	6, 0x0
	.amdhsa_kernel _ZN9rocsparseL29bsrmmnt_small_blockdim_kernelILj64ELj16ELj2EllDF16_DF16_ffEEv20rocsparse_direction_T3_S2_llNS_24const_host_device_scalarIT7_EEPKT2_PKS2_PKT4_PKT5_llS5_PT6_ll16rocsparse_order_21rocsparse_index_base_b
		.amdhsa_group_segment_fixed_size 896
		.amdhsa_private_segment_fixed_size 0
		.amdhsa_kernarg_size 400
		.amdhsa_user_sgpr_count 15
		.amdhsa_user_sgpr_dispatch_ptr 0
		.amdhsa_user_sgpr_queue_ptr 0
		.amdhsa_user_sgpr_kernarg_segment_ptr 1
		.amdhsa_user_sgpr_dispatch_id 0
		.amdhsa_user_sgpr_private_segment_size 0
		.amdhsa_wavefront_size32 1
		.amdhsa_uses_dynamic_stack 0
		.amdhsa_enable_private_segment 0
		.amdhsa_system_sgpr_workgroup_id_x 1
		.amdhsa_system_sgpr_workgroup_id_y 0
		.amdhsa_system_sgpr_workgroup_id_z 0
		.amdhsa_system_sgpr_workgroup_info 0
		.amdhsa_system_vgpr_workitem_id 0
		.amdhsa_next_free_vgpr 32
		.amdhsa_next_free_sgpr 28
		.amdhsa_reserve_vcc 1
		.amdhsa_float_round_mode_32 0
		.amdhsa_float_round_mode_16_64 0
		.amdhsa_float_denorm_mode_32 3
		.amdhsa_float_denorm_mode_16_64 3
		.amdhsa_dx10_clamp 1
		.amdhsa_ieee_mode 1
		.amdhsa_fp16_overflow 0
		.amdhsa_workgroup_processor_mode 1
		.amdhsa_memory_ordered 1
		.amdhsa_forward_progress 0
		.amdhsa_shared_vgpr_count 0
		.amdhsa_exception_fp_ieee_invalid_op 0
		.amdhsa_exception_fp_denorm_src 0
		.amdhsa_exception_fp_ieee_div_zero 0
		.amdhsa_exception_fp_ieee_overflow 0
		.amdhsa_exception_fp_ieee_underflow 0
		.amdhsa_exception_fp_ieee_inexact 0
		.amdhsa_exception_int_div_zero 0
	.end_amdhsa_kernel
	.section	.text._ZN9rocsparseL29bsrmmnt_small_blockdim_kernelILj64ELj16ELj2EllDF16_DF16_ffEEv20rocsparse_direction_T3_S2_llNS_24const_host_device_scalarIT7_EEPKT2_PKS2_PKT4_PKT5_llS5_PT6_ll16rocsparse_order_21rocsparse_index_base_b,"axG",@progbits,_ZN9rocsparseL29bsrmmnt_small_blockdim_kernelILj64ELj16ELj2EllDF16_DF16_ffEEv20rocsparse_direction_T3_S2_llNS_24const_host_device_scalarIT7_EEPKT2_PKS2_PKT4_PKT5_llS5_PT6_ll16rocsparse_order_21rocsparse_index_base_b,comdat
.Lfunc_end78:
	.size	_ZN9rocsparseL29bsrmmnt_small_blockdim_kernelILj64ELj16ELj2EllDF16_DF16_ffEEv20rocsparse_direction_T3_S2_llNS_24const_host_device_scalarIT7_EEPKT2_PKS2_PKT4_PKT5_llS5_PT6_ll16rocsparse_order_21rocsparse_index_base_b, .Lfunc_end78-_ZN9rocsparseL29bsrmmnt_small_blockdim_kernelILj64ELj16ELj2EllDF16_DF16_ffEEv20rocsparse_direction_T3_S2_llNS_24const_host_device_scalarIT7_EEPKT2_PKS2_PKT4_PKT5_llS5_PT6_ll16rocsparse_order_21rocsparse_index_base_b
                                        ; -- End function
	.section	.AMDGPU.csdata,"",@progbits
; Kernel info:
; codeLenInByte = 1612
; NumSgprs: 30
; NumVgprs: 32
; ScratchSize: 0
; MemoryBound: 0
; FloatMode: 240
; IeeeMode: 1
; LDSByteSize: 896 bytes/workgroup (compile time only)
; SGPRBlocks: 3
; VGPRBlocks: 3
; NumSGPRsForWavesPerEU: 30
; NumVGPRsForWavesPerEU: 32
; Occupancy: 16
; WaveLimiterHint : 1
; COMPUTE_PGM_RSRC2:SCRATCH_EN: 0
; COMPUTE_PGM_RSRC2:USER_SGPR: 15
; COMPUTE_PGM_RSRC2:TRAP_HANDLER: 0
; COMPUTE_PGM_RSRC2:TGID_X_EN: 1
; COMPUTE_PGM_RSRC2:TGID_Y_EN: 0
; COMPUTE_PGM_RSRC2:TGID_Z_EN: 0
; COMPUTE_PGM_RSRC2:TIDIG_COMP_CNT: 0
	.section	.text._ZN9rocsparseL29bsrmmnt_small_blockdim_kernelILj64ELj32ELj2EllDF16_DF16_ffEEv20rocsparse_direction_T3_S2_llNS_24const_host_device_scalarIT7_EEPKT2_PKS2_PKT4_PKT5_llS5_PT6_ll16rocsparse_order_21rocsparse_index_base_b,"axG",@progbits,_ZN9rocsparseL29bsrmmnt_small_blockdim_kernelILj64ELj32ELj2EllDF16_DF16_ffEEv20rocsparse_direction_T3_S2_llNS_24const_host_device_scalarIT7_EEPKT2_PKS2_PKT4_PKT5_llS5_PT6_ll16rocsparse_order_21rocsparse_index_base_b,comdat
	.globl	_ZN9rocsparseL29bsrmmnt_small_blockdim_kernelILj64ELj32ELj2EllDF16_DF16_ffEEv20rocsparse_direction_T3_S2_llNS_24const_host_device_scalarIT7_EEPKT2_PKS2_PKT4_PKT5_llS5_PT6_ll16rocsparse_order_21rocsparse_index_base_b ; -- Begin function _ZN9rocsparseL29bsrmmnt_small_blockdim_kernelILj64ELj32ELj2EllDF16_DF16_ffEEv20rocsparse_direction_T3_S2_llNS_24const_host_device_scalarIT7_EEPKT2_PKS2_PKT4_PKT5_llS5_PT6_ll16rocsparse_order_21rocsparse_index_base_b
	.p2align	8
	.type	_ZN9rocsparseL29bsrmmnt_small_blockdim_kernelILj64ELj32ELj2EllDF16_DF16_ffEEv20rocsparse_direction_T3_S2_llNS_24const_host_device_scalarIT7_EEPKT2_PKS2_PKT4_PKT5_llS5_PT6_ll16rocsparse_order_21rocsparse_index_base_b,@function
_ZN9rocsparseL29bsrmmnt_small_blockdim_kernelILj64ELj32ELj2EllDF16_DF16_ffEEv20rocsparse_direction_T3_S2_llNS_24const_host_device_scalarIT7_EEPKT2_PKS2_PKT4_PKT5_llS5_PT6_ll16rocsparse_order_21rocsparse_index_base_b: ; @_ZN9rocsparseL29bsrmmnt_small_blockdim_kernelILj64ELj32ELj2EllDF16_DF16_ffEEv20rocsparse_direction_T3_S2_llNS_24const_host_device_scalarIT7_EEPKT2_PKS2_PKT4_PKT5_llS5_PT6_ll16rocsparse_order_21rocsparse_index_base_b
; %bb.0:
	s_clause 0x2
	s_load_b128 s[20:23], s[0:1], 0x80
	s_load_b64 s[2:3], s[0:1], 0x28
	s_load_b64 s[24:25], s[0:1], 0x60
	s_waitcnt lgkmcnt(0)
	s_bitcmp1_b32 s22, 0
	s_cselect_b32 s4, -1, 0
	s_delay_alu instid0(SALU_CYCLE_1)
	s_and_b32 vcc_lo, exec_lo, s4
	s_xor_b32 s4, s4, -1
	s_cbranch_vccnz .LBB79_2
; %bb.1:
	s_load_b32 s2, s[2:3], 0x0
.LBB79_2:
	s_and_not1_b32 vcc_lo, exec_lo, s4
	s_cbranch_vccnz .LBB79_4
; %bb.3:
	s_load_b32 s24, s[24:25], 0x0
.LBB79_4:
	s_waitcnt lgkmcnt(0)
	v_cmp_eq_f32_e64 s3, s2, 0
	v_cmp_eq_f32_e64 s4, s24, 1.0
	s_delay_alu instid0(VALU_DEP_1) | instskip(NEXT) | instid1(SALU_CYCLE_1)
	s_and_b32 s3, s3, s4
	s_and_b32 vcc_lo, exec_lo, s3
	s_cbranch_vccnz .LBB79_30
; %bb.5:
	s_clause 0x1
	s_load_b32 s3, s[0:1], 0x9c
	s_load_b128 s[16:19], s[0:1], 0x8
	v_mov_b32_e32 v3, 0
	s_waitcnt lgkmcnt(0)
	s_and_b32 s3, s3, 0xffff
	s_delay_alu instid0(SALU_CYCLE_1) | instskip(SKIP_1) | instid1(VALU_DEP_1)
	v_mad_u64_u32 v[1:2], null, s15, s3, v[0:1]
	s_mov_b32 s3, exec_lo
	v_lshrrev_b32_e32 v2, 6, v1
	s_delay_alu instid0(VALU_DEP_1)
	v_cmpx_gt_i64_e64 s[16:17], v[2:3]
	s_cbranch_execz .LBB79_30
; %bb.6:
	v_cmp_lt_i64_e64 s3, s[18:19], 1
	s_delay_alu instid0(VALU_DEP_1)
	s_and_b32 vcc_lo, exec_lo, s3
	s_cbranch_vccnz .LBB79_30
; %bb.7:
	s_load_b256 s[4:11], s[0:1], 0x30
	v_lshlrev_b32_e32 v2, 3, v2
	s_load_b128 s[12:15], s[0:1], 0x68
	v_lshrrev_b32_e32 v12, 5, v1
	v_bfe_u32 v8, v1, 5, 1
	v_dual_mov_b32 v9, 0 :: v_dual_and_b32 v14, 31, v0
	s_cmp_lg_u32 s20, 1
	v_cmp_neq_f32_e64 s20, s24, 0
	s_cselect_b32 s22, -1, 0
	s_mov_b32 s3, s21
	s_waitcnt lgkmcnt(0)
	global_load_b128 v[4:7], v2, s[4:5]
	s_load_b64 s[4:5], s[0:1], 0x50
	v_mad_u64_u32 v[2:3], null, v12, s14, 0
	s_load_b32 s0, s[0:1], 0x0
	s_delay_alu instid0(VALU_DEP_1) | instskip(SKIP_1) | instid1(VALU_DEP_2)
	v_mov_b32_e32 v1, v3
	v_lshrrev_b32_e32 v3, 5, v0
	v_mad_u64_u32 v[10:11], null, v12, s15, v[1:2]
	s_delay_alu instid0(VALU_DEP_2) | instskip(SKIP_2) | instid1(VALU_DEP_3)
	v_mul_u32_u24_e32 v0, 0xc0, v3
	v_lshlrev_b32_e32 v15, 8, v3
	v_mul_u32_u24_e32 v1, 3, v14
	v_or_b32_e32 v16, 0x200, v0
	v_dual_mov_b32 v3, v10 :: v_dual_lshlrev_b32 v10, 2, v12
	s_waitcnt lgkmcnt(0)
	s_cmp_eq_u32 s0, 0
	v_lshl_or_b32 v17, v14, 3, v15
	v_lshl_add_u32 v18, v1, 1, v16
	v_lshlrev_b64 v[0:1], 2, v[2:3]
	s_cselect_b32 s1, -1, 0
	v_add_co_u32 v19, s0, s12, v10
	v_cndmask_b32_e64 v10, 0, 1, s1
	v_add_co_ci_u32_e64 v20, null, s13, 0, s0
	s_delay_alu instid0(VALU_DEP_4)
	v_add_co_u32 v21, vcc_lo, s12, v0
	v_add_co_ci_u32_e32 v22, vcc_lo, s13, v1, vcc_lo
	s_and_b32 s1, s1, exec_lo
	s_mov_b64 s[12:13], 0
	s_waitcnt vmcnt(0)
	v_sub_co_u32 v0, vcc_lo, v4, s21
	v_subrev_co_ci_u32_e32 v1, vcc_lo, 0, v5, vcc_lo
	v_sub_co_u32 v2, vcc_lo, v6, s21
	v_cmp_lt_i64_e64 s0, v[4:5], v[6:7]
	v_lshlrev_b64 v[4:5], v10, v[8:9]
	v_subrev_co_ci_u32_e32 v3, vcc_lo, 0, v7, vcc_lo
	s_cselect_b32 s21, 1, 2
	s_lshl_b64 s[16:17], s[4:5], 1
	s_branch .LBB79_9
.LBB79_8:                               ;   in Loop: Header=BB79_9 Depth=1
	s_or_b32 exec_lo, exec_lo, s1
	s_add_u32 s12, s12, 32
	s_addc_u32 s13, s13, 0
	s_delay_alu instid0(SALU_CYCLE_1) | instskip(NEXT) | instid1(VALU_DEP_1)
	v_cmp_lt_i64_e64 s1, s[12:13], s[18:19]
	s_and_b32 vcc_lo, exec_lo, s1
	s_cbranch_vccz .LBB79_30
.LBB79_9:                               ; =>This Loop Header: Depth=1
                                        ;     Child Loop BB79_12 Depth 2
                                        ;       Child Loop BB79_16 Depth 3
	v_or_b32_e64 v7, s13, 0
	v_or_b32_e32 v6, s12, v14
	v_mov_b32_e32 v23, 0
	s_and_saveexec_b32 s23, s0
	s_cbranch_execz .LBB79_18
; %bb.10:                               ;   in Loop: Header=BB79_9 Depth=1
	s_delay_alu instid0(VALU_DEP_2) | instskip(SKIP_3) | instid1(VALU_DEP_3)
	v_lshlrev_b64 v[8:9], 1, v[6:7]
	v_cmp_gt_i64_e32 vcc_lo, s[18:19], v[6:7]
	v_mov_b32_e32 v23, 0
	s_mov_b32 s25, 0
	v_add_co_u32 v24, s1, s10, v8
	s_delay_alu instid0(VALU_DEP_1)
	v_add_co_ci_u32_e64 v25, s1, s11, v9, s1
	v_dual_mov_b32 v9, v1 :: v_dual_mov_b32 v8, v0
	s_branch .LBB79_12
.LBB79_11:                              ;   in Loop: Header=BB79_12 Depth=2
	s_or_b32 exec_lo, exec_lo, s26
	v_add_co_u32 v8, s1, v8, 32
	s_delay_alu instid0(VALU_DEP_1) | instskip(NEXT) | instid1(VALU_DEP_1)
	v_add_co_ci_u32_e64 v9, s1, 0, v9, s1
	v_cmp_ge_i64_e64 s1, v[8:9], v[2:3]
	s_delay_alu instid0(VALU_DEP_1) | instskip(NEXT) | instid1(SALU_CYCLE_1)
	s_or_b32 s25, s1, s25
	s_and_not1_b32 exec_lo, exec_lo, s25
	s_cbranch_execz .LBB79_17
.LBB79_12:                              ;   Parent Loop BB79_9 Depth=1
                                        ; =>  This Loop Header: Depth=2
                                        ;       Child Loop BB79_16 Depth 3
	s_delay_alu instid0(VALU_DEP_1) | instskip(SKIP_1) | instid1(VALU_DEP_3)
	v_add_co_u32 v10, s1, v8, v14
	v_mov_b32_e32 v12, 0
	v_add_co_ci_u32_e64 v11, s1, 0, v9, s1
	v_dual_mov_b32 v13, 0 :: v_dual_mov_b32 v26, 0
	s_mov_b32 s26, exec_lo
	s_delay_alu instid0(VALU_DEP_2)
	v_cmpx_lt_i64_e64 v[10:11], v[2:3]
	s_cbranch_execz .LBB79_14
; %bb.13:                               ;   in Loop: Header=BB79_12 Depth=2
	v_lshlrev_b64 v[12:13], 2, v[10:11]
	v_lshlrev_b64 v[10:11], 3, v[10:11]
	s_delay_alu instid0(VALU_DEP_2) | instskip(NEXT) | instid1(VALU_DEP_3)
	v_or_b32_e32 v13, v13, v5
	v_or_b32_e32 v12, v12, v4
	s_delay_alu instid0(VALU_DEP_1) | instskip(SKIP_2) | instid1(VALU_DEP_3)
	v_lshlrev_b64 v[26:27], 1, v[12:13]
	v_or_b32_e32 v13, 0, v13
	v_or_b32_e32 v12, s21, v12
	v_add_co_u32 v26, s1, s8, v26
	s_delay_alu instid0(VALU_DEP_1) | instskip(SKIP_1) | instid1(VALU_DEP_1)
	v_add_co_ci_u32_e64 v27, s1, s9, v27, s1
	v_add_co_u32 v10, s1, s6, v10
	v_add_co_ci_u32_e64 v11, s1, s7, v11, s1
	global_load_u16 v26, v[26:27], off
	v_lshlrev_b64 v[12:13], 1, v[12:13]
	global_load_b64 v[10:11], v[10:11], off
	v_add_co_u32 v12, s1, s8, v12
	s_delay_alu instid0(VALU_DEP_1) | instskip(SKIP_3) | instid1(VALU_DEP_1)
	v_add_co_ci_u32_e64 v13, s1, s9, v13, s1
	global_load_d16_hi_b16 v26, v[12:13], off
	s_waitcnt vmcnt(1)
	v_sub_co_u32 v10, s1, v10, s3
	v_subrev_co_ci_u32_e64 v11, s1, 0, v11, s1
	s_delay_alu instid0(VALU_DEP_1)
	v_lshlrev_b64 v[12:13], 1, v[10:11]
.LBB79_14:                              ;   in Loop: Header=BB79_12 Depth=2
	s_or_b32 exec_lo, exec_lo, s26
	ds_store_b64 v17, v[12:13]
	s_waitcnt vmcnt(0)
	ds_store_b32 v18, v26
	s_waitcnt lgkmcnt(0)
	s_waitcnt_vscnt null, 0x0
	s_barrier
	buffer_gl0_inv
	s_and_saveexec_b32 s26, vcc_lo
	s_cbranch_execz .LBB79_11
; %bb.15:                               ;   in Loop: Header=BB79_12 Depth=2
	v_mov_b32_e32 v10, v16
	s_mov_b32 s27, 0
.LBB79_16:                              ;   Parent Loop BB79_9 Depth=1
                                        ;     Parent Loop BB79_12 Depth=2
                                        ; =>    This Inner Loop Header: Depth=3
	s_delay_alu instid0(SALU_CYCLE_1) | instskip(SKIP_1) | instid1(SALU_CYCLE_1)
	v_add_nc_u32_e32 v11, s27, v15
	s_add_i32 s27, s27, 16
	s_cmpk_lg_i32 s27, 0x100
	ds_load_b128 v[26:29], v11
	s_waitcnt lgkmcnt(0)
	v_mul_lo_u32 v13, v27, s4
	v_mul_lo_u32 v30, v26, s5
	v_mad_u64_u32 v[11:12], null, v26, s4, 0
	v_mul_lo_u32 v29, v29, s4
	v_mul_lo_u32 v31, v28, s5
	v_mad_u64_u32 v[26:27], null, v28, s4, 0
	s_delay_alu instid0(VALU_DEP_4) | instskip(NEXT) | instid1(VALU_DEP_2)
	v_add3_u32 v12, v12, v30, v13
	v_add3_u32 v27, v27, v31, v29
	s_delay_alu instid0(VALU_DEP_2) | instskip(NEXT) | instid1(VALU_DEP_2)
	v_lshlrev_b64 v[11:12], 1, v[11:12]
	v_lshlrev_b64 v[26:27], 1, v[26:27]
	s_delay_alu instid0(VALU_DEP_2) | instskip(NEXT) | instid1(VALU_DEP_1)
	v_add_co_u32 v11, s1, v24, v11
	v_add_co_ci_u32_e64 v12, s1, v25, v12, s1
	global_load_u16 v13, v[11:12], off
	v_add_co_u32 v11, s1, v11, s16
	s_delay_alu instid0(VALU_DEP_1) | instskip(SKIP_1) | instid1(VALU_DEP_1)
	v_add_co_ci_u32_e64 v12, s1, s17, v12, s1
	v_add_co_u32 v26, s1, v24, v26
	v_add_co_ci_u32_e64 v27, s1, v25, v27, s1
	global_load_u16 v28, v[11:12], off
	v_add_co_u32 v11, s1, v26, s16
	s_delay_alu instid0(VALU_DEP_1)
	v_add_co_ci_u32_e64 v12, s1, s17, v27, s1
	s_clause 0x1
	global_load_u16 v26, v[26:27], off
	global_load_u16 v11, v[11:12], off
	ds_load_b32 v12, v10
	ds_load_u16 v27, v10 offset:6
	ds_load_u16 v29, v10 offset:8
	v_add_nc_u32_e32 v10, 12, v10
	s_waitcnt vmcnt(3) lgkmcnt(2)
	v_fma_mix_f32 v13, v12, v13, v23 op_sel_hi:[1,1,0]
	s_waitcnt vmcnt(2)
	s_delay_alu instid0(VALU_DEP_1) | instskip(SKIP_1) | instid1(VALU_DEP_1)
	v_fma_mix_f32 v12, v12, v28, v13 op_sel:[1,0,0] op_sel_hi:[1,1,0]
	s_waitcnt vmcnt(1) lgkmcnt(1)
	v_fma_mix_f32 v12, v27, v26, v12 op_sel_hi:[1,1,0]
	s_waitcnt vmcnt(0) lgkmcnt(0)
	s_delay_alu instid0(VALU_DEP_1)
	v_fma_mix_f32 v23, v29, v11, v12 op_sel_hi:[1,1,0]
	s_cbranch_scc1 .LBB79_16
	s_branch .LBB79_11
.LBB79_17:                              ;   in Loop: Header=BB79_9 Depth=1
	s_or_b32 exec_lo, exec_lo, s25
.LBB79_18:                              ;   in Loop: Header=BB79_9 Depth=1
	s_delay_alu instid0(SALU_CYCLE_1) | instskip(NEXT) | instid1(SALU_CYCLE_1)
	s_or_b32 exec_lo, exec_lo, s23
	s_mov_b32 s1, exec_lo
	v_cmpx_gt_i64_e64 s[18:19], v[6:7]
	s_cbranch_execz .LBB79_8
; %bb.19:                               ;   in Loop: Header=BB79_9 Depth=1
	s_and_b32 vcc_lo, exec_lo, s20
	s_cbranch_vccz .LBB79_25
; %bb.20:                               ;   in Loop: Header=BB79_9 Depth=1
	s_and_b32 vcc_lo, exec_lo, s22
	s_mov_b32 s23, -1
	s_cbranch_vccz .LBB79_22
; %bb.21:                               ;   in Loop: Header=BB79_9 Depth=1
	v_lshlrev_b64 v[8:9], 2, v[6:7]
	v_mul_f32_e32 v11, s2, v23
	s_mov_b32 s23, 0
	s_delay_alu instid0(VALU_DEP_2) | instskip(NEXT) | instid1(VALU_DEP_3)
	v_add_co_u32 v8, vcc_lo, v21, v8
	v_add_co_ci_u32_e32 v9, vcc_lo, v22, v9, vcc_lo
	global_load_b32 v10, v[8:9], off
	s_waitcnt vmcnt(0)
	v_fmac_f32_e32 v11, s24, v10
	global_store_b32 v[8:9], v11, off
.LBB79_22:                              ;   in Loop: Header=BB79_9 Depth=1
	s_and_not1_b32 vcc_lo, exec_lo, s23
	s_cbranch_vccnz .LBB79_24
; %bb.23:                               ;   in Loop: Header=BB79_9 Depth=1
	v_mul_lo_u32 v10, v7, s14
	v_mul_lo_u32 v11, v6, s15
	v_mad_u64_u32 v[8:9], null, v6, s14, 0
	s_delay_alu instid0(VALU_DEP_1) | instskip(SKIP_1) | instid1(VALU_DEP_2)
	v_add3_u32 v9, v9, v11, v10
	v_mul_f32_e32 v11, s2, v23
	v_lshlrev_b64 v[8:9], 2, v[8:9]
	s_delay_alu instid0(VALU_DEP_1) | instskip(NEXT) | instid1(VALU_DEP_2)
	v_add_co_u32 v8, vcc_lo, v19, v8
	v_add_co_ci_u32_e32 v9, vcc_lo, v20, v9, vcc_lo
	global_load_b32 v10, v[8:9], off
	s_waitcnt vmcnt(0)
	v_fmac_f32_e32 v11, s24, v10
	global_store_b32 v[8:9], v11, off
.LBB79_24:                              ;   in Loop: Header=BB79_9 Depth=1
	s_cbranch_execnz .LBB79_8
	s_branch .LBB79_26
.LBB79_25:                              ;   in Loop: Header=BB79_9 Depth=1
.LBB79_26:                              ;   in Loop: Header=BB79_9 Depth=1
	v_mul_f32_e32 v8, s2, v23
	s_and_b32 vcc_lo, exec_lo, s22
	s_mov_b32 s23, -1
	s_cbranch_vccz .LBB79_28
; %bb.27:                               ;   in Loop: Header=BB79_9 Depth=1
	v_lshlrev_b64 v[9:10], 2, v[6:7]
	s_mov_b32 s23, 0
	s_delay_alu instid0(VALU_DEP_1) | instskip(NEXT) | instid1(VALU_DEP_2)
	v_add_co_u32 v9, vcc_lo, v21, v9
	v_add_co_ci_u32_e32 v10, vcc_lo, v22, v10, vcc_lo
	global_store_b32 v[9:10], v8, off
.LBB79_28:                              ;   in Loop: Header=BB79_9 Depth=1
	s_and_not1_b32 vcc_lo, exec_lo, s23
	s_cbranch_vccnz .LBB79_8
; %bb.29:                               ;   in Loop: Header=BB79_9 Depth=1
	v_mul_lo_u32 v7, v7, s14
	v_mul_lo_u32 v11, v6, s15
	v_mad_u64_u32 v[9:10], null, v6, s14, 0
	s_delay_alu instid0(VALU_DEP_1) | instskip(NEXT) | instid1(VALU_DEP_1)
	v_add3_u32 v10, v10, v11, v7
	v_lshlrev_b64 v[6:7], 2, v[9:10]
	s_delay_alu instid0(VALU_DEP_1) | instskip(NEXT) | instid1(VALU_DEP_2)
	v_add_co_u32 v6, vcc_lo, v19, v6
	v_add_co_ci_u32_e32 v7, vcc_lo, v20, v7, vcc_lo
	global_store_b32 v[6:7], v8, off
	s_branch .LBB79_8
.LBB79_30:
	s_nop 0
	s_sendmsg sendmsg(MSG_DEALLOC_VGPRS)
	s_endpgm
	.section	.rodata,"a",@progbits
	.p2align	6, 0x0
	.amdhsa_kernel _ZN9rocsparseL29bsrmmnt_small_blockdim_kernelILj64ELj32ELj2EllDF16_DF16_ffEEv20rocsparse_direction_T3_S2_llNS_24const_host_device_scalarIT7_EEPKT2_PKS2_PKT4_PKT5_llS5_PT6_ll16rocsparse_order_21rocsparse_index_base_b
		.amdhsa_group_segment_fixed_size 896
		.amdhsa_private_segment_fixed_size 0
		.amdhsa_kernarg_size 400
		.amdhsa_user_sgpr_count 15
		.amdhsa_user_sgpr_dispatch_ptr 0
		.amdhsa_user_sgpr_queue_ptr 0
		.amdhsa_user_sgpr_kernarg_segment_ptr 1
		.amdhsa_user_sgpr_dispatch_id 0
		.amdhsa_user_sgpr_private_segment_size 0
		.amdhsa_wavefront_size32 1
		.amdhsa_uses_dynamic_stack 0
		.amdhsa_enable_private_segment 0
		.amdhsa_system_sgpr_workgroup_id_x 1
		.amdhsa_system_sgpr_workgroup_id_y 0
		.amdhsa_system_sgpr_workgroup_id_z 0
		.amdhsa_system_sgpr_workgroup_info 0
		.amdhsa_system_vgpr_workitem_id 0
		.amdhsa_next_free_vgpr 32
		.amdhsa_next_free_sgpr 28
		.amdhsa_reserve_vcc 1
		.amdhsa_float_round_mode_32 0
		.amdhsa_float_round_mode_16_64 0
		.amdhsa_float_denorm_mode_32 3
		.amdhsa_float_denorm_mode_16_64 3
		.amdhsa_dx10_clamp 1
		.amdhsa_ieee_mode 1
		.amdhsa_fp16_overflow 0
		.amdhsa_workgroup_processor_mode 1
		.amdhsa_memory_ordered 1
		.amdhsa_forward_progress 0
		.amdhsa_shared_vgpr_count 0
		.amdhsa_exception_fp_ieee_invalid_op 0
		.amdhsa_exception_fp_denorm_src 0
		.amdhsa_exception_fp_ieee_div_zero 0
		.amdhsa_exception_fp_ieee_overflow 0
		.amdhsa_exception_fp_ieee_underflow 0
		.amdhsa_exception_fp_ieee_inexact 0
		.amdhsa_exception_int_div_zero 0
	.end_amdhsa_kernel
	.section	.text._ZN9rocsparseL29bsrmmnt_small_blockdim_kernelILj64ELj32ELj2EllDF16_DF16_ffEEv20rocsparse_direction_T3_S2_llNS_24const_host_device_scalarIT7_EEPKT2_PKS2_PKT4_PKT5_llS5_PT6_ll16rocsparse_order_21rocsparse_index_base_b,"axG",@progbits,_ZN9rocsparseL29bsrmmnt_small_blockdim_kernelILj64ELj32ELj2EllDF16_DF16_ffEEv20rocsparse_direction_T3_S2_llNS_24const_host_device_scalarIT7_EEPKT2_PKS2_PKT4_PKT5_llS5_PT6_ll16rocsparse_order_21rocsparse_index_base_b,comdat
.Lfunc_end79:
	.size	_ZN9rocsparseL29bsrmmnt_small_blockdim_kernelILj64ELj32ELj2EllDF16_DF16_ffEEv20rocsparse_direction_T3_S2_llNS_24const_host_device_scalarIT7_EEPKT2_PKS2_PKT4_PKT5_llS5_PT6_ll16rocsparse_order_21rocsparse_index_base_b, .Lfunc_end79-_ZN9rocsparseL29bsrmmnt_small_blockdim_kernelILj64ELj32ELj2EllDF16_DF16_ffEEv20rocsparse_direction_T3_S2_llNS_24const_host_device_scalarIT7_EEPKT2_PKS2_PKT4_PKT5_llS5_PT6_ll16rocsparse_order_21rocsparse_index_base_b
                                        ; -- End function
	.section	.AMDGPU.csdata,"",@progbits
; Kernel info:
; codeLenInByte = 1612
; NumSgprs: 30
; NumVgprs: 32
; ScratchSize: 0
; MemoryBound: 0
; FloatMode: 240
; IeeeMode: 1
; LDSByteSize: 896 bytes/workgroup (compile time only)
; SGPRBlocks: 3
; VGPRBlocks: 3
; NumSGPRsForWavesPerEU: 30
; NumVGPRsForWavesPerEU: 32
; Occupancy: 16
; WaveLimiterHint : 1
; COMPUTE_PGM_RSRC2:SCRATCH_EN: 0
; COMPUTE_PGM_RSRC2:USER_SGPR: 15
; COMPUTE_PGM_RSRC2:TRAP_HANDLER: 0
; COMPUTE_PGM_RSRC2:TGID_X_EN: 1
; COMPUTE_PGM_RSRC2:TGID_Y_EN: 0
; COMPUTE_PGM_RSRC2:TGID_Z_EN: 0
; COMPUTE_PGM_RSRC2:TIDIG_COMP_CNT: 0
	.section	.text._ZN9rocsparseL29bsrmmnt_small_blockdim_kernelILj64ELj64ELj2EllDF16_DF16_ffEEv20rocsparse_direction_T3_S2_llNS_24const_host_device_scalarIT7_EEPKT2_PKS2_PKT4_PKT5_llS5_PT6_ll16rocsparse_order_21rocsparse_index_base_b,"axG",@progbits,_ZN9rocsparseL29bsrmmnt_small_blockdim_kernelILj64ELj64ELj2EllDF16_DF16_ffEEv20rocsparse_direction_T3_S2_llNS_24const_host_device_scalarIT7_EEPKT2_PKS2_PKT4_PKT5_llS5_PT6_ll16rocsparse_order_21rocsparse_index_base_b,comdat
	.globl	_ZN9rocsparseL29bsrmmnt_small_blockdim_kernelILj64ELj64ELj2EllDF16_DF16_ffEEv20rocsparse_direction_T3_S2_llNS_24const_host_device_scalarIT7_EEPKT2_PKS2_PKT4_PKT5_llS5_PT6_ll16rocsparse_order_21rocsparse_index_base_b ; -- Begin function _ZN9rocsparseL29bsrmmnt_small_blockdim_kernelILj64ELj64ELj2EllDF16_DF16_ffEEv20rocsparse_direction_T3_S2_llNS_24const_host_device_scalarIT7_EEPKT2_PKS2_PKT4_PKT5_llS5_PT6_ll16rocsparse_order_21rocsparse_index_base_b
	.p2align	8
	.type	_ZN9rocsparseL29bsrmmnt_small_blockdim_kernelILj64ELj64ELj2EllDF16_DF16_ffEEv20rocsparse_direction_T3_S2_llNS_24const_host_device_scalarIT7_EEPKT2_PKS2_PKT4_PKT5_llS5_PT6_ll16rocsparse_order_21rocsparse_index_base_b,@function
_ZN9rocsparseL29bsrmmnt_small_blockdim_kernelILj64ELj64ELj2EllDF16_DF16_ffEEv20rocsparse_direction_T3_S2_llNS_24const_host_device_scalarIT7_EEPKT2_PKS2_PKT4_PKT5_llS5_PT6_ll16rocsparse_order_21rocsparse_index_base_b: ; @_ZN9rocsparseL29bsrmmnt_small_blockdim_kernelILj64ELj64ELj2EllDF16_DF16_ffEEv20rocsparse_direction_T3_S2_llNS_24const_host_device_scalarIT7_EEPKT2_PKS2_PKT4_PKT5_llS5_PT6_ll16rocsparse_order_21rocsparse_index_base_b
; %bb.0:
	s_clause 0x2
	s_load_b128 s[20:23], s[0:1], 0x80
	s_load_b64 s[2:3], s[0:1], 0x28
	s_load_b64 s[24:25], s[0:1], 0x60
	s_waitcnt lgkmcnt(0)
	s_bitcmp1_b32 s22, 0
	s_cselect_b32 s4, -1, 0
	s_delay_alu instid0(SALU_CYCLE_1)
	s_and_b32 vcc_lo, exec_lo, s4
	s_xor_b32 s4, s4, -1
	s_cbranch_vccnz .LBB80_2
; %bb.1:
	s_load_b32 s2, s[2:3], 0x0
.LBB80_2:
	s_and_not1_b32 vcc_lo, exec_lo, s4
	s_cbranch_vccnz .LBB80_4
; %bb.3:
	s_load_b32 s24, s[24:25], 0x0
.LBB80_4:
	s_waitcnt lgkmcnt(0)
	v_cmp_eq_f32_e64 s3, s2, 0
	v_cmp_eq_f32_e64 s4, s24, 1.0
	s_delay_alu instid0(VALU_DEP_1) | instskip(NEXT) | instid1(SALU_CYCLE_1)
	s_and_b32 s3, s3, s4
	s_and_b32 vcc_lo, exec_lo, s3
	s_cbranch_vccnz .LBB80_30
; %bb.5:
	s_clause 0x1
	s_load_b32 s3, s[0:1], 0x9c
	s_load_b128 s[16:19], s[0:1], 0x8
	v_mov_b32_e32 v3, 0
	s_waitcnt lgkmcnt(0)
	s_and_b32 s3, s3, 0xffff
	s_delay_alu instid0(SALU_CYCLE_1) | instskip(SKIP_1) | instid1(VALU_DEP_1)
	v_mad_u64_u32 v[1:2], null, s15, s3, v[0:1]
	s_mov_b32 s3, exec_lo
	v_lshrrev_b32_e32 v2, 7, v1
	s_delay_alu instid0(VALU_DEP_1)
	v_cmpx_gt_i64_e64 s[16:17], v[2:3]
	s_cbranch_execz .LBB80_30
; %bb.6:
	v_cmp_lt_i64_e64 s3, s[18:19], 1
	s_delay_alu instid0(VALU_DEP_1)
	s_and_b32 vcc_lo, exec_lo, s3
	s_cbranch_vccnz .LBB80_30
; %bb.7:
	s_load_b256 s[4:11], s[0:1], 0x30
	v_dual_mov_b32 v11, 0 :: v_dual_lshlrev_b32 v2, 3, v2
	s_load_b128 s[12:15], s[0:1], 0x68
	v_lshrrev_b32_e32 v4, 6, v1
	s_cmp_lg_u32 s20, 1
	v_lshlrev_b32_e32 v15, 3, v0
	s_cselect_b32 s22, -1, 0
	v_cmp_neq_f32_e64 s20, s24, 0
	s_mov_b32 s3, s21
	s_waitcnt lgkmcnt(0)
	global_load_b128 v[5:8], v2, s[4:5]
	s_clause 0x1
	s_load_b64 s[4:5], s[0:1], 0x50
	s_load_b32 s0, s[0:1], 0x0
	v_mad_u64_u32 v[2:3], null, v4, s14, 0
	s_delay_alu instid0(VALU_DEP_1) | instskip(SKIP_2) | instid1(VALU_DEP_3)
	v_mad_u64_u32 v[9:10], null, v4, s15, v[3:4]
	v_bfe_u32 v10, v1, 6, 1
	v_mul_u32_u24_e32 v1, 3, v0
	v_dual_mov_b32 v3, v9 :: v_dual_lshlrev_b32 v4, 2, v4
	s_delay_alu instid0(VALU_DEP_2) | instskip(SKIP_2) | instid1(VALU_DEP_2)
	v_lshl_or_b32 v16, v1, 1, 0x200
	s_waitcnt lgkmcnt(0)
	s_cmp_eq_u32 s0, 0
	v_add_co_u32 v17, s0, s12, v4
	v_lshlrev_b64 v[1:2], 2, v[2:3]
	s_cselect_b32 s1, -1, 0
	v_add_co_ci_u32_e64 v18, null, s13, 0, s0
	v_cndmask_b32_e64 v9, 0, 1, s1
	s_and_b32 s1, s1, exec_lo
	s_delay_alu instid0(VALU_DEP_3)
	v_add_co_u32 v19, vcc_lo, s12, v1
	v_add_co_ci_u32_e32 v20, vcc_lo, s13, v2, vcc_lo
	s_mov_b64 s[12:13], 0
	s_waitcnt vmcnt(0)
	v_sub_co_u32 v1, vcc_lo, v5, s21
	v_subrev_co_ci_u32_e32 v2, vcc_lo, 0, v6, vcc_lo
	v_sub_co_u32 v3, vcc_lo, v7, s21
	v_cmp_lt_i64_e64 s0, v[5:6], v[7:8]
	v_lshlrev_b64 v[5:6], v9, v[10:11]
	v_subrev_co_ci_u32_e32 v4, vcc_lo, 0, v8, vcc_lo
	s_cselect_b32 s21, 1, 2
	s_lshl_b64 s[16:17], s[4:5], 1
	s_branch .LBB80_9
.LBB80_8:                               ;   in Loop: Header=BB80_9 Depth=1
	s_or_b32 exec_lo, exec_lo, s1
	s_add_u32 s12, s12, 64
	s_addc_u32 s13, s13, 0
	s_delay_alu instid0(SALU_CYCLE_1) | instskip(NEXT) | instid1(VALU_DEP_1)
	v_cmp_lt_i64_e64 s1, s[12:13], s[18:19]
	s_and_b32 vcc_lo, exec_lo, s1
	s_cbranch_vccz .LBB80_30
.LBB80_9:                               ; =>This Loop Header: Depth=1
                                        ;     Child Loop BB80_12 Depth 2
                                        ;       Child Loop BB80_16 Depth 3
	v_or_b32_e64 v8, s13, 0
	v_or_b32_e32 v7, s12, v0
	v_mov_b32_e32 v21, 0
	s_and_saveexec_b32 s23, s0
	s_cbranch_execz .LBB80_18
; %bb.10:                               ;   in Loop: Header=BB80_9 Depth=1
	s_delay_alu instid0(VALU_DEP_2) | instskip(SKIP_3) | instid1(VALU_DEP_3)
	v_lshlrev_b64 v[9:10], 1, v[7:8]
	v_cmp_gt_i64_e32 vcc_lo, s[18:19], v[7:8]
	v_mov_b32_e32 v21, 0
	s_mov_b32 s25, 0
	v_add_co_u32 v22, s1, s10, v9
	s_delay_alu instid0(VALU_DEP_1)
	v_add_co_ci_u32_e64 v23, s1, s11, v10, s1
	v_dual_mov_b32 v10, v2 :: v_dual_mov_b32 v9, v1
	s_branch .LBB80_12
.LBB80_11:                              ;   in Loop: Header=BB80_12 Depth=2
	s_or_b32 exec_lo, exec_lo, s26
	v_add_co_u32 v9, s1, v9, 64
	s_delay_alu instid0(VALU_DEP_1) | instskip(NEXT) | instid1(VALU_DEP_1)
	v_add_co_ci_u32_e64 v10, s1, 0, v10, s1
	v_cmp_ge_i64_e64 s1, v[9:10], v[3:4]
	s_delay_alu instid0(VALU_DEP_1) | instskip(NEXT) | instid1(SALU_CYCLE_1)
	s_or_b32 s25, s1, s25
	s_and_not1_b32 exec_lo, exec_lo, s25
	s_cbranch_execz .LBB80_17
.LBB80_12:                              ;   Parent Loop BB80_9 Depth=1
                                        ; =>  This Loop Header: Depth=2
                                        ;       Child Loop BB80_16 Depth 3
	s_delay_alu instid0(VALU_DEP_1) | instskip(SKIP_1) | instid1(VALU_DEP_3)
	v_add_co_u32 v11, s1, v9, v0
	v_dual_mov_b32 v13, 0 :: v_dual_mov_b32 v24, 0
	v_add_co_ci_u32_e64 v12, s1, 0, v10, s1
	v_mov_b32_e32 v14, 0
	s_mov_b32 s26, exec_lo
	s_delay_alu instid0(VALU_DEP_2)
	v_cmpx_lt_i64_e64 v[11:12], v[3:4]
	s_cbranch_execz .LBB80_14
; %bb.13:                               ;   in Loop: Header=BB80_12 Depth=2
	v_lshlrev_b64 v[13:14], 2, v[11:12]
	v_lshlrev_b64 v[11:12], 3, v[11:12]
	s_delay_alu instid0(VALU_DEP_2) | instskip(NEXT) | instid1(VALU_DEP_3)
	v_or_b32_e32 v14, v14, v6
	v_or_b32_e32 v13, v13, v5
	s_delay_alu instid0(VALU_DEP_1) | instskip(SKIP_2) | instid1(VALU_DEP_3)
	v_lshlrev_b64 v[24:25], 1, v[13:14]
	v_or_b32_e32 v14, 0, v14
	v_or_b32_e32 v13, s21, v13
	v_add_co_u32 v24, s1, s8, v24
	s_delay_alu instid0(VALU_DEP_1) | instskip(SKIP_1) | instid1(VALU_DEP_1)
	v_add_co_ci_u32_e64 v25, s1, s9, v25, s1
	v_add_co_u32 v11, s1, s6, v11
	v_add_co_ci_u32_e64 v12, s1, s7, v12, s1
	global_load_u16 v24, v[24:25], off
	v_lshlrev_b64 v[13:14], 1, v[13:14]
	global_load_b64 v[11:12], v[11:12], off
	v_add_co_u32 v13, s1, s8, v13
	s_delay_alu instid0(VALU_DEP_1) | instskip(SKIP_3) | instid1(VALU_DEP_1)
	v_add_co_ci_u32_e64 v14, s1, s9, v14, s1
	global_load_d16_hi_b16 v24, v[13:14], off
	s_waitcnt vmcnt(1)
	v_sub_co_u32 v11, s1, v11, s3
	v_subrev_co_ci_u32_e64 v12, s1, 0, v12, s1
	s_delay_alu instid0(VALU_DEP_1)
	v_lshlrev_b64 v[13:14], 1, v[11:12]
.LBB80_14:                              ;   in Loop: Header=BB80_12 Depth=2
	s_or_b32 exec_lo, exec_lo, s26
	ds_store_b64 v15, v[13:14]
	s_waitcnt vmcnt(0)
	ds_store_b32 v16, v24
	s_waitcnt lgkmcnt(0)
	s_waitcnt_vscnt null, 0x0
	s_barrier
	buffer_gl0_inv
	s_and_saveexec_b32 s26, vcc_lo
	s_cbranch_execz .LBB80_11
; %bb.15:                               ;   in Loop: Header=BB80_12 Depth=2
	v_mov_b32_e32 v11, 0x200
	s_mov_b32 s27, 0
.LBB80_16:                              ;   Parent Loop BB80_9 Depth=1
                                        ;     Parent Loop BB80_12 Depth=2
                                        ; =>    This Inner Loop Header: Depth=3
	s_delay_alu instid0(SALU_CYCLE_1)
	v_mov_b32_e32 v12, s27
	s_add_i32 s27, s27, 16
	ds_load_b128 v[24:27], v12
	s_waitcnt lgkmcnt(0)
	v_readfirstlane_b32 s1, v24
	v_mul_lo_u32 v13, v25, s4
	v_readfirstlane_b32 s28, v26
	v_mul_lo_u32 v14, v27, s4
	s_delay_alu instid0(VALU_DEP_4)
	s_mul_i32 s29, s1, s5
	s_mul_hi_u32 s30, s1, s4
	s_mul_i32 s1, s1, s4
	s_mul_i32 s31, s28, s5
	s_mul_hi_u32 s33, s28, s4
	s_add_i32 s30, s30, s29
	s_add_i32 s33, s33, s31
	v_dual_mov_b32 v12, s1 :: v_dual_add_nc_u32 v13, s30, v13
	v_add_nc_u32_e32 v25, s33, v14
	s_mul_i32 s28, s28, s4
	s_cmpk_lg_i32 s27, 0x200
	v_mov_b32_e32 v24, s28
	v_lshlrev_b64 v[12:13], 1, v[12:13]
	s_delay_alu instid0(VALU_DEP_2) | instskip(NEXT) | instid1(VALU_DEP_2)
	v_lshlrev_b64 v[24:25], 1, v[24:25]
	v_add_co_u32 v12, s1, v22, v12
	s_delay_alu instid0(VALU_DEP_1) | instskip(SKIP_2) | instid1(VALU_DEP_1)
	v_add_co_ci_u32_e64 v13, s1, v23, v13, s1
	global_load_u16 v14, v[12:13], off
	v_add_co_u32 v12, s1, v12, s16
	v_add_co_ci_u32_e64 v13, s1, s17, v13, s1
	v_add_co_u32 v24, s1, v22, v24
	s_delay_alu instid0(VALU_DEP_1) | instskip(SKIP_2) | instid1(VALU_DEP_1)
	v_add_co_ci_u32_e64 v25, s1, v23, v25, s1
	global_load_u16 v26, v[12:13], off
	v_add_co_u32 v12, s1, v24, s16
	v_add_co_ci_u32_e64 v13, s1, s17, v25, s1
	s_clause 0x1
	global_load_u16 v24, v[24:25], off
	global_load_u16 v12, v[12:13], off
	ds_load_b32 v13, v11
	ds_load_u16 v25, v11 offset:6
	ds_load_u16 v27, v11 offset:8
	v_add_nc_u32_e32 v11, 12, v11
	s_waitcnt vmcnt(3) lgkmcnt(2)
	v_fma_mix_f32 v14, v13, v14, v21 op_sel_hi:[1,1,0]
	s_waitcnt vmcnt(2)
	s_delay_alu instid0(VALU_DEP_1) | instskip(SKIP_1) | instid1(VALU_DEP_1)
	v_fma_mix_f32 v13, v13, v26, v14 op_sel:[1,0,0] op_sel_hi:[1,1,0]
	s_waitcnt vmcnt(1) lgkmcnt(1)
	v_fma_mix_f32 v13, v25, v24, v13 op_sel_hi:[1,1,0]
	s_waitcnt vmcnt(0) lgkmcnt(0)
	s_delay_alu instid0(VALU_DEP_1)
	v_fma_mix_f32 v21, v27, v12, v13 op_sel_hi:[1,1,0]
	s_cbranch_scc1 .LBB80_16
	s_branch .LBB80_11
.LBB80_17:                              ;   in Loop: Header=BB80_9 Depth=1
	s_or_b32 exec_lo, exec_lo, s25
.LBB80_18:                              ;   in Loop: Header=BB80_9 Depth=1
	s_delay_alu instid0(SALU_CYCLE_1) | instskip(NEXT) | instid1(SALU_CYCLE_1)
	s_or_b32 exec_lo, exec_lo, s23
	s_mov_b32 s1, exec_lo
	v_cmpx_gt_i64_e64 s[18:19], v[7:8]
	s_cbranch_execz .LBB80_8
; %bb.19:                               ;   in Loop: Header=BB80_9 Depth=1
	s_and_b32 vcc_lo, exec_lo, s20
	s_cbranch_vccz .LBB80_25
; %bb.20:                               ;   in Loop: Header=BB80_9 Depth=1
	s_and_b32 vcc_lo, exec_lo, s22
	s_mov_b32 s23, -1
	s_cbranch_vccz .LBB80_22
; %bb.21:                               ;   in Loop: Header=BB80_9 Depth=1
	v_lshlrev_b64 v[9:10], 2, v[7:8]
	v_mul_f32_e32 v12, s2, v21
	s_mov_b32 s23, 0
	s_delay_alu instid0(VALU_DEP_2) | instskip(NEXT) | instid1(VALU_DEP_3)
	v_add_co_u32 v9, vcc_lo, v19, v9
	v_add_co_ci_u32_e32 v10, vcc_lo, v20, v10, vcc_lo
	global_load_b32 v11, v[9:10], off
	s_waitcnt vmcnt(0)
	v_fmac_f32_e32 v12, s24, v11
	global_store_b32 v[9:10], v12, off
.LBB80_22:                              ;   in Loop: Header=BB80_9 Depth=1
	s_and_not1_b32 vcc_lo, exec_lo, s23
	s_cbranch_vccnz .LBB80_24
; %bb.23:                               ;   in Loop: Header=BB80_9 Depth=1
	v_mul_lo_u32 v11, v8, s14
	v_mul_lo_u32 v12, v7, s15
	v_mad_u64_u32 v[9:10], null, v7, s14, 0
	s_delay_alu instid0(VALU_DEP_1) | instskip(SKIP_1) | instid1(VALU_DEP_2)
	v_add3_u32 v10, v10, v12, v11
	v_mul_f32_e32 v12, s2, v21
	v_lshlrev_b64 v[9:10], 2, v[9:10]
	s_delay_alu instid0(VALU_DEP_1) | instskip(NEXT) | instid1(VALU_DEP_2)
	v_add_co_u32 v9, vcc_lo, v17, v9
	v_add_co_ci_u32_e32 v10, vcc_lo, v18, v10, vcc_lo
	global_load_b32 v11, v[9:10], off
	s_waitcnt vmcnt(0)
	v_fmac_f32_e32 v12, s24, v11
	global_store_b32 v[9:10], v12, off
.LBB80_24:                              ;   in Loop: Header=BB80_9 Depth=1
	s_cbranch_execnz .LBB80_8
	s_branch .LBB80_26
.LBB80_25:                              ;   in Loop: Header=BB80_9 Depth=1
.LBB80_26:                              ;   in Loop: Header=BB80_9 Depth=1
	v_mul_f32_e32 v9, s2, v21
	s_and_b32 vcc_lo, exec_lo, s22
	s_mov_b32 s23, -1
	s_cbranch_vccz .LBB80_28
; %bb.27:                               ;   in Loop: Header=BB80_9 Depth=1
	v_lshlrev_b64 v[10:11], 2, v[7:8]
	s_mov_b32 s23, 0
	s_delay_alu instid0(VALU_DEP_1) | instskip(NEXT) | instid1(VALU_DEP_2)
	v_add_co_u32 v10, vcc_lo, v19, v10
	v_add_co_ci_u32_e32 v11, vcc_lo, v20, v11, vcc_lo
	global_store_b32 v[10:11], v9, off
.LBB80_28:                              ;   in Loop: Header=BB80_9 Depth=1
	s_and_not1_b32 vcc_lo, exec_lo, s23
	s_cbranch_vccnz .LBB80_8
; %bb.29:                               ;   in Loop: Header=BB80_9 Depth=1
	v_mul_lo_u32 v8, v8, s14
	v_mul_lo_u32 v12, v7, s15
	v_mad_u64_u32 v[10:11], null, v7, s14, 0
	s_delay_alu instid0(VALU_DEP_1) | instskip(NEXT) | instid1(VALU_DEP_1)
	v_add3_u32 v11, v11, v12, v8
	v_lshlrev_b64 v[7:8], 2, v[10:11]
	s_delay_alu instid0(VALU_DEP_1) | instskip(NEXT) | instid1(VALU_DEP_2)
	v_add_co_u32 v7, vcc_lo, v17, v7
	v_add_co_ci_u32_e32 v8, vcc_lo, v18, v8, vcc_lo
	global_store_b32 v[7:8], v9, off
	s_branch .LBB80_8
.LBB80_30:
	s_nop 0
	s_sendmsg sendmsg(MSG_DEALLOC_VGPRS)
	s_endpgm
	.section	.rodata,"a",@progbits
	.p2align	6, 0x0
	.amdhsa_kernel _ZN9rocsparseL29bsrmmnt_small_blockdim_kernelILj64ELj64ELj2EllDF16_DF16_ffEEv20rocsparse_direction_T3_S2_llNS_24const_host_device_scalarIT7_EEPKT2_PKS2_PKT4_PKT5_llS5_PT6_ll16rocsparse_order_21rocsparse_index_base_b
		.amdhsa_group_segment_fixed_size 896
		.amdhsa_private_segment_fixed_size 0
		.amdhsa_kernarg_size 400
		.amdhsa_user_sgpr_count 15
		.amdhsa_user_sgpr_dispatch_ptr 0
		.amdhsa_user_sgpr_queue_ptr 0
		.amdhsa_user_sgpr_kernarg_segment_ptr 1
		.amdhsa_user_sgpr_dispatch_id 0
		.amdhsa_user_sgpr_private_segment_size 0
		.amdhsa_wavefront_size32 1
		.amdhsa_uses_dynamic_stack 0
		.amdhsa_enable_private_segment 0
		.amdhsa_system_sgpr_workgroup_id_x 1
		.amdhsa_system_sgpr_workgroup_id_y 0
		.amdhsa_system_sgpr_workgroup_id_z 0
		.amdhsa_system_sgpr_workgroup_info 0
		.amdhsa_system_vgpr_workitem_id 0
		.amdhsa_next_free_vgpr 28
		.amdhsa_next_free_sgpr 34
		.amdhsa_reserve_vcc 1
		.amdhsa_float_round_mode_32 0
		.amdhsa_float_round_mode_16_64 0
		.amdhsa_float_denorm_mode_32 3
		.amdhsa_float_denorm_mode_16_64 3
		.amdhsa_dx10_clamp 1
		.amdhsa_ieee_mode 1
		.amdhsa_fp16_overflow 0
		.amdhsa_workgroup_processor_mode 1
		.amdhsa_memory_ordered 1
		.amdhsa_forward_progress 0
		.amdhsa_shared_vgpr_count 0
		.amdhsa_exception_fp_ieee_invalid_op 0
		.amdhsa_exception_fp_denorm_src 0
		.amdhsa_exception_fp_ieee_div_zero 0
		.amdhsa_exception_fp_ieee_overflow 0
		.amdhsa_exception_fp_ieee_underflow 0
		.amdhsa_exception_fp_ieee_inexact 0
		.amdhsa_exception_int_div_zero 0
	.end_amdhsa_kernel
	.section	.text._ZN9rocsparseL29bsrmmnt_small_blockdim_kernelILj64ELj64ELj2EllDF16_DF16_ffEEv20rocsparse_direction_T3_S2_llNS_24const_host_device_scalarIT7_EEPKT2_PKS2_PKT4_PKT5_llS5_PT6_ll16rocsparse_order_21rocsparse_index_base_b,"axG",@progbits,_ZN9rocsparseL29bsrmmnt_small_blockdim_kernelILj64ELj64ELj2EllDF16_DF16_ffEEv20rocsparse_direction_T3_S2_llNS_24const_host_device_scalarIT7_EEPKT2_PKS2_PKT4_PKT5_llS5_PT6_ll16rocsparse_order_21rocsparse_index_base_b,comdat
.Lfunc_end80:
	.size	_ZN9rocsparseL29bsrmmnt_small_blockdim_kernelILj64ELj64ELj2EllDF16_DF16_ffEEv20rocsparse_direction_T3_S2_llNS_24const_host_device_scalarIT7_EEPKT2_PKS2_PKT4_PKT5_llS5_PT6_ll16rocsparse_order_21rocsparse_index_base_b, .Lfunc_end80-_ZN9rocsparseL29bsrmmnt_small_blockdim_kernelILj64ELj64ELj2EllDF16_DF16_ffEEv20rocsparse_direction_T3_S2_llNS_24const_host_device_scalarIT7_EEPKT2_PKS2_PKT4_PKT5_llS5_PT6_ll16rocsparse_order_21rocsparse_index_base_b
                                        ; -- End function
	.section	.AMDGPU.csdata,"",@progbits
; Kernel info:
; codeLenInByte = 1592
; NumSgprs: 36
; NumVgprs: 28
; ScratchSize: 0
; MemoryBound: 0
; FloatMode: 240
; IeeeMode: 1
; LDSByteSize: 896 bytes/workgroup (compile time only)
; SGPRBlocks: 4
; VGPRBlocks: 3
; NumSGPRsForWavesPerEU: 36
; NumVGPRsForWavesPerEU: 28
; Occupancy: 16
; WaveLimiterHint : 1
; COMPUTE_PGM_RSRC2:SCRATCH_EN: 0
; COMPUTE_PGM_RSRC2:USER_SGPR: 15
; COMPUTE_PGM_RSRC2:TRAP_HANDLER: 0
; COMPUTE_PGM_RSRC2:TGID_X_EN: 1
; COMPUTE_PGM_RSRC2:TGID_Y_EN: 0
; COMPUTE_PGM_RSRC2:TGID_Z_EN: 0
; COMPUTE_PGM_RSRC2:TIDIG_COMP_CNT: 0
	.section	.text._ZN9rocsparseL29bsrmmnt_small_blockdim_kernelILj64ELj8ELj2EiiaaiiEEv20rocsparse_direction_T3_S2_llNS_24const_host_device_scalarIT7_EEPKT2_PKS2_PKT4_PKT5_llS5_PT6_ll16rocsparse_order_21rocsparse_index_base_b,"axG",@progbits,_ZN9rocsparseL29bsrmmnt_small_blockdim_kernelILj64ELj8ELj2EiiaaiiEEv20rocsparse_direction_T3_S2_llNS_24const_host_device_scalarIT7_EEPKT2_PKS2_PKT4_PKT5_llS5_PT6_ll16rocsparse_order_21rocsparse_index_base_b,comdat
	.globl	_ZN9rocsparseL29bsrmmnt_small_blockdim_kernelILj64ELj8ELj2EiiaaiiEEv20rocsparse_direction_T3_S2_llNS_24const_host_device_scalarIT7_EEPKT2_PKS2_PKT4_PKT5_llS5_PT6_ll16rocsparse_order_21rocsparse_index_base_b ; -- Begin function _ZN9rocsparseL29bsrmmnt_small_blockdim_kernelILj64ELj8ELj2EiiaaiiEEv20rocsparse_direction_T3_S2_llNS_24const_host_device_scalarIT7_EEPKT2_PKS2_PKT4_PKT5_llS5_PT6_ll16rocsparse_order_21rocsparse_index_base_b
	.p2align	8
	.type	_ZN9rocsparseL29bsrmmnt_small_blockdim_kernelILj64ELj8ELj2EiiaaiiEEv20rocsparse_direction_T3_S2_llNS_24const_host_device_scalarIT7_EEPKT2_PKS2_PKT4_PKT5_llS5_PT6_ll16rocsparse_order_21rocsparse_index_base_b,@function
_ZN9rocsparseL29bsrmmnt_small_blockdim_kernelILj64ELj8ELj2EiiaaiiEEv20rocsparse_direction_T3_S2_llNS_24const_host_device_scalarIT7_EEPKT2_PKS2_PKT4_PKT5_llS5_PT6_ll16rocsparse_order_21rocsparse_index_base_b: ; @_ZN9rocsparseL29bsrmmnt_small_blockdim_kernelILj64ELj8ELj2EiiaaiiEEv20rocsparse_direction_T3_S2_llNS_24const_host_device_scalarIT7_EEPKT2_PKS2_PKT4_PKT5_llS5_PT6_ll16rocsparse_order_21rocsparse_index_base_b
; %bb.0:
	s_clause 0x1
	s_load_b128 s[16:19], s[0:1], 0x78
	s_load_b64 s[4:5], s[0:1], 0x20
	s_mov_b32 s7, -1
	s_waitcnt lgkmcnt(0)
	s_bitcmp1_b32 s18, 0
                                        ; implicit-def: $sgpr18
	s_cselect_b32 s2, -1, 0
	s_delay_alu instid0(SALU_CYCLE_1) | instskip(NEXT) | instid1(SALU_CYCLE_1)
	s_xor_b32 s6, s2, -1
	s_and_b32 vcc_lo, exec_lo, s6
	s_cbranch_vccnz .LBB81_4
; %bb.1:
	s_load_b64 s[2:3], s[0:1], 0x58
	s_and_not1_b32 vcc_lo, exec_lo, s7
	s_cbranch_vccz .LBB81_5
.LBB81_2:
	s_and_b32 vcc_lo, exec_lo, s6
	s_cbranch_vccz .LBB81_6
.LBB81_3:
	s_waitcnt lgkmcnt(0)
	s_load_b32 s19, s[2:3], 0x0
	s_cbranch_execz .LBB81_7
	s_branch .LBB81_8
.LBB81_4:
	s_load_b32 s18, s[4:5], 0x0
	s_load_b64 s[2:3], s[0:1], 0x58
	s_cbranch_execnz .LBB81_2
.LBB81_5:
	s_waitcnt lgkmcnt(0)
	s_mov_b32 s18, s4
	s_and_b32 vcc_lo, exec_lo, s6
	s_cbranch_vccnz .LBB81_3
.LBB81_6:
	s_waitcnt lgkmcnt(0)
                                        ; implicit-def: $sgpr19
.LBB81_7:
	s_waitcnt lgkmcnt(0)
	s_mov_b32 s19, s2
.LBB81_8:
	s_cmp_eq_u32 s18, 0
	s_cselect_b32 s2, -1, 0
	s_waitcnt lgkmcnt(0)
	s_cmp_eq_u32 s19, 1
	s_cselect_b32 s3, -1, 0
	s_delay_alu instid0(SALU_CYCLE_1) | instskip(NEXT) | instid1(SALU_CYCLE_1)
	s_and_b32 s2, s2, s3
	s_and_b32 vcc_lo, exec_lo, s2
	s_cbranch_vccnz .LBB81_34
; %bb.9:
	s_clause 0x1
	s_load_b32 s2, s[0:1], 0x94
	s_load_b128 s[20:23], s[0:1], 0x0
	s_waitcnt lgkmcnt(0)
	s_and_b32 s2, s2, 0xffff
	s_delay_alu instid0(SALU_CYCLE_1) | instskip(SKIP_1) | instid1(VALU_DEP_1)
	v_mad_u64_u32 v[1:2], null, s15, s2, v[0:1]
	s_mov_b32 s2, exec_lo
	v_lshrrev_b32_e32 v2, 4, v1
	s_delay_alu instid0(VALU_DEP_1)
	v_cmpx_gt_i32_e64 s21, v2
	s_cbranch_execz .LBB81_34
; %bb.10:
	s_cmp_lt_i32 s22, 1
	s_cbranch_scc1 .LBB81_34
; %bb.11:
	s_clause 0x2
	s_load_b128 s[12:15], s[0:1], 0x60
	s_load_b64 s[2:3], s[0:1], 0x48
	s_load_b256 s[4:11], s[0:1], 0x28
	v_lshrrev_b32_e32 v8, 3, v1
	v_bfe_u32 v17, v1, 3, 1
	s_cmp_lg_u32 s19, 0
	s_delay_alu instid0(VALU_DEP_2) | instskip(SKIP_3) | instid1(VALU_DEP_3)
	v_lshlrev_b32_e32 v11, 2, v8
	s_waitcnt lgkmcnt(0)
	v_mad_u64_u32 v[4:5], null, v8, s14, 0
	v_lshlrev_b32_e32 v2, 2, v2
	v_add_co_u32 v11, s0, s12, v11
	s_delay_alu instid0(VALU_DEP_1) | instskip(NEXT) | instid1(VALU_DEP_4)
	v_add_co_ci_u32_e64 v12, null, s13, 0, s0
	v_mov_b32_e32 v1, v5
	global_load_b64 v[2:3], v2, s[4:5]
	s_cselect_b32 s4, -1, 0
	s_cmp_lg_u32 s16, 1
	s_cselect_b32 s5, -1, 0
	s_cmp_eq_u32 s20, 0
	s_cselect_b32 s1, -1, 0
	s_delay_alu instid0(SALU_CYCLE_1) | instskip(SKIP_1) | instid1(VALU_DEP_1)
	v_cndmask_b32_e64 v18, 0, 1, s1
	s_and_b32 s1, s1, exec_lo
	v_lshlrev_b32_e32 v17, v18, v17
	s_waitcnt vmcnt(0)
	v_mad_u64_u32 v[9:10], null, v8, s15, v[1:2]
	v_and_b32_e32 v6, 7, v0
	v_lshrrev_b32_e32 v0, 3, v0
	v_subrev_nc_u32_e32 v15, s17, v2
	v_subrev_nc_u32_e32 v16, s17, v3
	v_cmp_lt_i32_e64 s0, v2, v3
	v_mov_b32_e32 v5, v9
	v_mul_u32_u24_e32 v1, 24, v0
	v_lshlrev_b32_e32 v7, 5, v0
	s_delay_alu instid0(VALU_DEP_2) | instskip(NEXT) | instid1(VALU_DEP_4)
	v_or_b32_e32 v8, 0x100, v1
	v_lshlrev_b64 v[0:1], 2, v[4:5]
	s_delay_alu instid0(VALU_DEP_3) | instskip(NEXT) | instid1(VALU_DEP_3)
	v_lshl_or_b32 v9, v6, 2, v7
	v_mad_u32_u24 v10, v6, 3, v8
	s_delay_alu instid0(VALU_DEP_3) | instskip(NEXT) | instid1(VALU_DEP_4)
	v_add_co_u32 v13, vcc_lo, s12, v0
	v_add_co_ci_u32_e32 v14, vcc_lo, s13, v1, vcc_lo
	s_mov_b32 s12, 0
	s_cselect_b32 s13, 1, 2
	s_branch .LBB81_13
.LBB81_12:                              ;   in Loop: Header=BB81_13 Depth=1
	s_or_b32 exec_lo, exec_lo, s1
	s_add_i32 s12, s12, 8
	s_delay_alu instid0(SALU_CYCLE_1)
	s_cmp_lt_i32 s12, s22
	s_cbranch_scc0 .LBB81_34
.LBB81_13:                              ; =>This Loop Header: Depth=1
                                        ;     Child Loop BB81_16 Depth 2
                                        ;       Child Loop BB81_20 Depth 3
	v_or_b32_e32 v0, s12, v6
	v_mov_b32_e32 v18, 0
	s_delay_alu instid0(VALU_DEP_2)
	v_ashrrev_i32_e32 v1, 31, v0
	s_and_saveexec_b32 s16, s0
	s_cbranch_execz .LBB81_22
; %bb.14:                               ;   in Loop: Header=BB81_13 Depth=1
	v_add_co_u32 v2, s1, s10, v0
	v_cmp_gt_i32_e32 vcc_lo, s22, v0
	v_add_co_ci_u32_e64 v3, s1, s11, v1, s1
	v_dual_mov_b32 v18, 0 :: v_dual_mov_b32 v19, v15
	s_mov_b32 s20, 0
	s_branch .LBB81_16
.LBB81_15:                              ;   in Loop: Header=BB81_16 Depth=2
	s_or_b32 exec_lo, exec_lo, s1
	v_add_nc_u32_e32 v19, 8, v19
	s_delay_alu instid0(VALU_DEP_1) | instskip(NEXT) | instid1(VALU_DEP_1)
	v_cmp_ge_i32_e64 s1, v19, v16
	s_or_b32 s20, s1, s20
	s_delay_alu instid0(SALU_CYCLE_1)
	s_and_not1_b32 exec_lo, exec_lo, s20
	s_cbranch_execz .LBB81_21
.LBB81_16:                              ;   Parent Loop BB81_13 Depth=1
                                        ; =>  This Loop Header: Depth=2
                                        ;       Child Loop BB81_20 Depth 3
	s_delay_alu instid0(VALU_DEP_1) | instskip(SKIP_2) | instid1(VALU_DEP_2)
	v_dual_mov_b32 v21, 0 :: v_dual_add_nc_u32 v4, v19, v6
	v_dual_mov_b32 v5, 0 :: v_dual_mov_b32 v20, 0
	s_mov_b32 s21, exec_lo
	v_cmpx_lt_i32_e64 v4, v16
	s_cbranch_execz .LBB81_18
; %bb.17:                               ;   in Loop: Header=BB81_16 Depth=2
	v_ashrrev_i32_e32 v5, 31, v4
	s_delay_alu instid0(VALU_DEP_1) | instskip(SKIP_1) | instid1(VALU_DEP_2)
	v_lshlrev_b64 v[20:21], 2, v[4:5]
	v_lshl_or_b32 v4, v4, 2, v17
	v_add_co_u32 v20, s1, s6, v20
	s_delay_alu instid0(VALU_DEP_1)
	v_add_co_ci_u32_e64 v21, s1, s7, v21, s1
	global_load_b32 v21, v[20:21], off
	v_or_b32_e32 v20, s13, v4
	s_clause 0x1
	global_load_u8 v5, v4, s[8:9]
	global_load_u8 v20, v20, s[8:9]
	s_waitcnt vmcnt(2)
	v_subrev_nc_u32_e32 v4, s17, v21
	s_delay_alu instid0(VALU_DEP_1)
	v_lshlrev_b32_e32 v21, 1, v4
.LBB81_18:                              ;   in Loop: Header=BB81_16 Depth=2
	s_or_b32 exec_lo, exec_lo, s21
	ds_store_b32 v9, v21
	s_waitcnt vmcnt(1)
	ds_store_b8 v10, v5
	s_waitcnt vmcnt(0)
	ds_store_b8 v10, v20 offset:1
	s_waitcnt lgkmcnt(0)
	s_waitcnt_vscnt null, 0x0
	s_barrier
	buffer_gl0_inv
	s_and_saveexec_b32 s1, vcc_lo
	s_cbranch_execz .LBB81_15
; %bb.19:                               ;   in Loop: Header=BB81_16 Depth=2
	v_mov_b32_e32 v4, v8
	s_mov_b32 s21, 0
.LBB81_20:                              ;   Parent Loop BB81_13 Depth=1
                                        ;     Parent Loop BB81_16 Depth=2
                                        ; =>    This Inner Loop Header: Depth=3
	s_delay_alu instid0(SALU_CYCLE_1) | instskip(SKIP_1) | instid1(SALU_CYCLE_1)
	v_add_nc_u32_e32 v5, s21, v7
	s_add_i32 s21, s21, 8
	s_cmp_lg_u32 s21, 32
	ds_load_b64 v[20:21], v5
	s_waitcnt lgkmcnt(0)
	v_add_nc_u32_e32 v26, 1, v20
	v_add_nc_u32_e32 v30, 1, v21
	v_ashrrev_i32_e32 v5, 31, v20
	v_ashrrev_i32_e32 v27, 31, v21
	v_mul_lo_u32 v28, v20, s3
	v_ashrrev_i32_e32 v31, 31, v26
	v_ashrrev_i32_e32 v34, 31, v30
	v_mad_u64_u32 v[22:23], null, v20, s2, v[2:3]
	v_mul_lo_u32 v5, v5, s2
	v_mul_lo_u32 v29, v21, s3
	v_mad_u64_u32 v[24:25], null, v21, s2, v[2:3]
	v_mul_lo_u32 v32, v26, s3
	v_mad_u64_u32 v[20:21], null, v26, s2, v[2:3]
	v_mul_lo_u32 v33, v27, s2
	v_mul_lo_u32 v35, v30, s3
	v_mad_u64_u32 v[26:27], null, v30, s2, v[2:3]
	v_mul_lo_u32 v30, v31, s2
	v_mul_lo_u32 v31, v34, s2
	v_add3_u32 v23, v5, v23, v28
	v_add3_u32 v25, v33, v25, v29
	s_delay_alu instid0(VALU_DEP_4) | instskip(NEXT) | instid1(VALU_DEP_4)
	v_add3_u32 v21, v30, v21, v32
	v_add3_u32 v27, v31, v27, v35
	s_clause 0x3
	global_load_i8 v5, v[22:23], off
	global_load_i8 v20, v[20:21], off
	;; [unrolled: 1-line block ×4, first 2 shown]
	ds_load_u16 v23, v4
	ds_load_i8 v24, v4 offset:3
	ds_load_i8 v25, v4 offset:4
	v_add_nc_u32_e32 v4, 6, v4
	s_waitcnt lgkmcnt(2)
	v_perm_b32 v23, v23, v23, 0xc0c0100
	s_waitcnt lgkmcnt(0)
	v_perm_b32 v24, v25, v24, 0x4000c0c
	s_waitcnt vmcnt(2)
	v_perm_b32 v5, v20, v5, 0xc0c0400
	s_waitcnt vmcnt(0)
	v_perm_b32 v20, v22, v21, 0x4000c0c
	v_or_b32_e32 v21, v24, v23
	s_delay_alu instid0(VALU_DEP_2) | instskip(NEXT) | instid1(VALU_DEP_1)
	v_or_b32_e32 v5, v20, v5
	v_dot4_i32_iu8 v18, v21, v5, v18 neg_lo:[1,1,0]
	s_cbranch_scc1 .LBB81_20
	s_branch .LBB81_15
.LBB81_21:                              ;   in Loop: Header=BB81_13 Depth=1
	s_or_b32 exec_lo, exec_lo, s20
.LBB81_22:                              ;   in Loop: Header=BB81_13 Depth=1
	s_delay_alu instid0(SALU_CYCLE_1) | instskip(NEXT) | instid1(SALU_CYCLE_1)
	s_or_b32 exec_lo, exec_lo, s16
	s_mov_b32 s1, exec_lo
	v_cmpx_gt_i32_e64 s22, v0
	s_cbranch_execz .LBB81_12
; %bb.23:                               ;   in Loop: Header=BB81_13 Depth=1
	s_and_b32 vcc_lo, exec_lo, s4
	s_cbranch_vccz .LBB81_29
; %bb.24:                               ;   in Loop: Header=BB81_13 Depth=1
	s_and_b32 vcc_lo, exec_lo, s5
	s_mov_b32 s16, -1
	s_cbranch_vccz .LBB81_26
; %bb.25:                               ;   in Loop: Header=BB81_13 Depth=1
	v_lshlrev_b64 v[2:3], 2, v[0:1]
	v_mul_lo_u32 v4, v18, s18
	s_mov_b32 s16, 0
	s_delay_alu instid0(VALU_DEP_2) | instskip(NEXT) | instid1(VALU_DEP_3)
	v_add_co_u32 v2, vcc_lo, v13, v2
	v_add_co_ci_u32_e32 v3, vcc_lo, v14, v3, vcc_lo
	global_load_b32 v5, v[2:3], off
	s_waitcnt vmcnt(0)
	v_mad_u64_u32 v[19:20], null, v5, s19, v[4:5]
	global_store_b32 v[2:3], v19, off
.LBB81_26:                              ;   in Loop: Header=BB81_13 Depth=1
	s_and_not1_b32 vcc_lo, exec_lo, s16
	s_cbranch_vccnz .LBB81_28
; %bb.27:                               ;   in Loop: Header=BB81_13 Depth=1
	v_mul_lo_u32 v4, v1, s14
	v_mul_lo_u32 v5, v0, s15
	v_mad_u64_u32 v[2:3], null, v0, s14, 0
	s_delay_alu instid0(VALU_DEP_1) | instskip(SKIP_1) | instid1(VALU_DEP_2)
	v_add3_u32 v3, v3, v5, v4
	v_mul_lo_u32 v4, v18, s18
	v_lshlrev_b64 v[2:3], 2, v[2:3]
	s_delay_alu instid0(VALU_DEP_1) | instskip(NEXT) | instid1(VALU_DEP_2)
	v_add_co_u32 v2, vcc_lo, v11, v2
	v_add_co_ci_u32_e32 v3, vcc_lo, v12, v3, vcc_lo
	global_load_b32 v5, v[2:3], off
	s_waitcnt vmcnt(0)
	v_mad_u64_u32 v[19:20], null, v5, s19, v[4:5]
	global_store_b32 v[2:3], v19, off
.LBB81_28:                              ;   in Loop: Header=BB81_13 Depth=1
	s_cbranch_execnz .LBB81_12
	s_branch .LBB81_30
.LBB81_29:                              ;   in Loop: Header=BB81_13 Depth=1
.LBB81_30:                              ;   in Loop: Header=BB81_13 Depth=1
	v_mul_lo_u32 v2, v18, s18
	s_and_b32 vcc_lo, exec_lo, s5
	s_mov_b32 s16, -1
	s_cbranch_vccz .LBB81_32
; %bb.31:                               ;   in Loop: Header=BB81_13 Depth=1
	v_lshlrev_b64 v[3:4], 2, v[0:1]
	s_mov_b32 s16, 0
	s_delay_alu instid0(VALU_DEP_1) | instskip(NEXT) | instid1(VALU_DEP_2)
	v_add_co_u32 v3, vcc_lo, v13, v3
	v_add_co_ci_u32_e32 v4, vcc_lo, v14, v4, vcc_lo
	global_store_b32 v[3:4], v2, off
.LBB81_32:                              ;   in Loop: Header=BB81_13 Depth=1
	s_and_not1_b32 vcc_lo, exec_lo, s16
	s_cbranch_vccnz .LBB81_12
; %bb.33:                               ;   in Loop: Header=BB81_13 Depth=1
	v_mul_lo_u32 v1, v1, s14
	v_mul_lo_u32 v5, v0, s15
	v_mad_u64_u32 v[3:4], null, v0, s14, 0
	s_delay_alu instid0(VALU_DEP_1) | instskip(NEXT) | instid1(VALU_DEP_1)
	v_add3_u32 v4, v4, v5, v1
	v_lshlrev_b64 v[0:1], 2, v[3:4]
	s_delay_alu instid0(VALU_DEP_1) | instskip(NEXT) | instid1(VALU_DEP_2)
	v_add_co_u32 v0, vcc_lo, v11, v0
	v_add_co_ci_u32_e32 v1, vcc_lo, v12, v1, vcc_lo
	global_store_b32 v[0:1], v2, off
	s_branch .LBB81_12
.LBB81_34:
	s_nop 0
	s_sendmsg sendmsg(MSG_DEALLOC_VGPRS)
	s_endpgm
	.section	.rodata,"a",@progbits
	.p2align	6, 0x0
	.amdhsa_kernel _ZN9rocsparseL29bsrmmnt_small_blockdim_kernelILj64ELj8ELj2EiiaaiiEEv20rocsparse_direction_T3_S2_llNS_24const_host_device_scalarIT7_EEPKT2_PKS2_PKT4_PKT5_llS5_PT6_ll16rocsparse_order_21rocsparse_index_base_b
		.amdhsa_group_segment_fixed_size 448
		.amdhsa_private_segment_fixed_size 0
		.amdhsa_kernarg_size 392
		.amdhsa_user_sgpr_count 15
		.amdhsa_user_sgpr_dispatch_ptr 0
		.amdhsa_user_sgpr_queue_ptr 0
		.amdhsa_user_sgpr_kernarg_segment_ptr 1
		.amdhsa_user_sgpr_dispatch_id 0
		.amdhsa_user_sgpr_private_segment_size 0
		.amdhsa_wavefront_size32 1
		.amdhsa_uses_dynamic_stack 0
		.amdhsa_enable_private_segment 0
		.amdhsa_system_sgpr_workgroup_id_x 1
		.amdhsa_system_sgpr_workgroup_id_y 0
		.amdhsa_system_sgpr_workgroup_id_z 0
		.amdhsa_system_sgpr_workgroup_info 0
		.amdhsa_system_vgpr_workitem_id 0
		.amdhsa_next_free_vgpr 36
		.amdhsa_next_free_sgpr 24
		.amdhsa_reserve_vcc 1
		.amdhsa_float_round_mode_32 0
		.amdhsa_float_round_mode_16_64 0
		.amdhsa_float_denorm_mode_32 3
		.amdhsa_float_denorm_mode_16_64 3
		.amdhsa_dx10_clamp 1
		.amdhsa_ieee_mode 1
		.amdhsa_fp16_overflow 0
		.amdhsa_workgroup_processor_mode 1
		.amdhsa_memory_ordered 1
		.amdhsa_forward_progress 0
		.amdhsa_shared_vgpr_count 0
		.amdhsa_exception_fp_ieee_invalid_op 0
		.amdhsa_exception_fp_denorm_src 0
		.amdhsa_exception_fp_ieee_div_zero 0
		.amdhsa_exception_fp_ieee_overflow 0
		.amdhsa_exception_fp_ieee_underflow 0
		.amdhsa_exception_fp_ieee_inexact 0
		.amdhsa_exception_int_div_zero 0
	.end_amdhsa_kernel
	.section	.text._ZN9rocsparseL29bsrmmnt_small_blockdim_kernelILj64ELj8ELj2EiiaaiiEEv20rocsparse_direction_T3_S2_llNS_24const_host_device_scalarIT7_EEPKT2_PKS2_PKT4_PKT5_llS5_PT6_ll16rocsparse_order_21rocsparse_index_base_b,"axG",@progbits,_ZN9rocsparseL29bsrmmnt_small_blockdim_kernelILj64ELj8ELj2EiiaaiiEEv20rocsparse_direction_T3_S2_llNS_24const_host_device_scalarIT7_EEPKT2_PKS2_PKT4_PKT5_llS5_PT6_ll16rocsparse_order_21rocsparse_index_base_b,comdat
.Lfunc_end81:
	.size	_ZN9rocsparseL29bsrmmnt_small_blockdim_kernelILj64ELj8ELj2EiiaaiiEEv20rocsparse_direction_T3_S2_llNS_24const_host_device_scalarIT7_EEPKT2_PKS2_PKT4_PKT5_llS5_PT6_ll16rocsparse_order_21rocsparse_index_base_b, .Lfunc_end81-_ZN9rocsparseL29bsrmmnt_small_blockdim_kernelILj64ELj8ELj2EiiaaiiEEv20rocsparse_direction_T3_S2_llNS_24const_host_device_scalarIT7_EEPKT2_PKS2_PKT4_PKT5_llS5_PT6_ll16rocsparse_order_21rocsparse_index_base_b
                                        ; -- End function
	.section	.AMDGPU.csdata,"",@progbits
; Kernel info:
; codeLenInByte = 1540
; NumSgprs: 26
; NumVgprs: 36
; ScratchSize: 0
; MemoryBound: 0
; FloatMode: 240
; IeeeMode: 1
; LDSByteSize: 448 bytes/workgroup (compile time only)
; SGPRBlocks: 3
; VGPRBlocks: 4
; NumSGPRsForWavesPerEU: 26
; NumVGPRsForWavesPerEU: 36
; Occupancy: 16
; WaveLimiterHint : 0
; COMPUTE_PGM_RSRC2:SCRATCH_EN: 0
; COMPUTE_PGM_RSRC2:USER_SGPR: 15
; COMPUTE_PGM_RSRC2:TRAP_HANDLER: 0
; COMPUTE_PGM_RSRC2:TGID_X_EN: 1
; COMPUTE_PGM_RSRC2:TGID_Y_EN: 0
; COMPUTE_PGM_RSRC2:TGID_Z_EN: 0
; COMPUTE_PGM_RSRC2:TIDIG_COMP_CNT: 0
	.section	.text._ZN9rocsparseL29bsrmmnt_small_blockdim_kernelILj64ELj16ELj2EiiaaiiEEv20rocsparse_direction_T3_S2_llNS_24const_host_device_scalarIT7_EEPKT2_PKS2_PKT4_PKT5_llS5_PT6_ll16rocsparse_order_21rocsparse_index_base_b,"axG",@progbits,_ZN9rocsparseL29bsrmmnt_small_blockdim_kernelILj64ELj16ELj2EiiaaiiEEv20rocsparse_direction_T3_S2_llNS_24const_host_device_scalarIT7_EEPKT2_PKS2_PKT4_PKT5_llS5_PT6_ll16rocsparse_order_21rocsparse_index_base_b,comdat
	.globl	_ZN9rocsparseL29bsrmmnt_small_blockdim_kernelILj64ELj16ELj2EiiaaiiEEv20rocsparse_direction_T3_S2_llNS_24const_host_device_scalarIT7_EEPKT2_PKS2_PKT4_PKT5_llS5_PT6_ll16rocsparse_order_21rocsparse_index_base_b ; -- Begin function _ZN9rocsparseL29bsrmmnt_small_blockdim_kernelILj64ELj16ELj2EiiaaiiEEv20rocsparse_direction_T3_S2_llNS_24const_host_device_scalarIT7_EEPKT2_PKS2_PKT4_PKT5_llS5_PT6_ll16rocsparse_order_21rocsparse_index_base_b
	.p2align	8
	.type	_ZN9rocsparseL29bsrmmnt_small_blockdim_kernelILj64ELj16ELj2EiiaaiiEEv20rocsparse_direction_T3_S2_llNS_24const_host_device_scalarIT7_EEPKT2_PKS2_PKT4_PKT5_llS5_PT6_ll16rocsparse_order_21rocsparse_index_base_b,@function
_ZN9rocsparseL29bsrmmnt_small_blockdim_kernelILj64ELj16ELj2EiiaaiiEEv20rocsparse_direction_T3_S2_llNS_24const_host_device_scalarIT7_EEPKT2_PKS2_PKT4_PKT5_llS5_PT6_ll16rocsparse_order_21rocsparse_index_base_b: ; @_ZN9rocsparseL29bsrmmnt_small_blockdim_kernelILj64ELj16ELj2EiiaaiiEEv20rocsparse_direction_T3_S2_llNS_24const_host_device_scalarIT7_EEPKT2_PKS2_PKT4_PKT5_llS5_PT6_ll16rocsparse_order_21rocsparse_index_base_b
; %bb.0:
	s_clause 0x1
	s_load_b128 s[16:19], s[0:1], 0x78
	s_load_b64 s[4:5], s[0:1], 0x20
	s_mov_b32 s7, -1
	s_waitcnt lgkmcnt(0)
	s_bitcmp1_b32 s18, 0
                                        ; implicit-def: $sgpr18
	s_cselect_b32 s2, -1, 0
	s_delay_alu instid0(SALU_CYCLE_1) | instskip(NEXT) | instid1(SALU_CYCLE_1)
	s_xor_b32 s6, s2, -1
	s_and_b32 vcc_lo, exec_lo, s6
	s_cbranch_vccnz .LBB82_4
; %bb.1:
	s_load_b64 s[2:3], s[0:1], 0x58
	s_and_not1_b32 vcc_lo, exec_lo, s7
	s_cbranch_vccz .LBB82_5
.LBB82_2:
	s_and_b32 vcc_lo, exec_lo, s6
	s_cbranch_vccz .LBB82_6
.LBB82_3:
	s_waitcnt lgkmcnt(0)
	s_load_b32 s19, s[2:3], 0x0
	s_cbranch_execz .LBB82_7
	s_branch .LBB82_8
.LBB82_4:
	s_load_b32 s18, s[4:5], 0x0
	s_load_b64 s[2:3], s[0:1], 0x58
	s_cbranch_execnz .LBB82_2
.LBB82_5:
	s_waitcnt lgkmcnt(0)
	s_mov_b32 s18, s4
	s_and_b32 vcc_lo, exec_lo, s6
	s_cbranch_vccnz .LBB82_3
.LBB82_6:
	s_waitcnt lgkmcnt(0)
                                        ; implicit-def: $sgpr19
.LBB82_7:
	s_waitcnt lgkmcnt(0)
	s_mov_b32 s19, s2
.LBB82_8:
	s_cmp_eq_u32 s18, 0
	s_cselect_b32 s2, -1, 0
	s_waitcnt lgkmcnt(0)
	s_cmp_eq_u32 s19, 1
	s_cselect_b32 s3, -1, 0
	s_delay_alu instid0(SALU_CYCLE_1) | instskip(NEXT) | instid1(SALU_CYCLE_1)
	s_and_b32 s2, s2, s3
	s_and_b32 vcc_lo, exec_lo, s2
	s_cbranch_vccnz .LBB82_34
; %bb.9:
	s_clause 0x1
	s_load_b32 s2, s[0:1], 0x94
	s_load_b128 s[20:23], s[0:1], 0x0
	s_waitcnt lgkmcnt(0)
	s_and_b32 s2, s2, 0xffff
	s_delay_alu instid0(SALU_CYCLE_1) | instskip(SKIP_1) | instid1(VALU_DEP_1)
	v_mad_u64_u32 v[1:2], null, s15, s2, v[0:1]
	s_mov_b32 s2, exec_lo
	v_lshrrev_b32_e32 v2, 5, v1
	s_delay_alu instid0(VALU_DEP_1)
	v_cmpx_gt_i32_e64 s21, v2
	s_cbranch_execz .LBB82_34
; %bb.10:
	s_cmp_lt_i32 s22, 1
	s_cbranch_scc1 .LBB82_34
; %bb.11:
	s_clause 0x2
	s_load_b128 s[12:15], s[0:1], 0x60
	s_load_b64 s[2:3], s[0:1], 0x48
	s_load_b256 s[4:11], s[0:1], 0x28
	v_lshrrev_b32_e32 v8, 4, v1
	v_bfe_u32 v17, v1, 4, 1
	s_cmp_lg_u32 s19, 0
	s_delay_alu instid0(VALU_DEP_2) | instskip(SKIP_3) | instid1(VALU_DEP_3)
	v_lshlrev_b32_e32 v11, 2, v8
	s_waitcnt lgkmcnt(0)
	v_mad_u64_u32 v[4:5], null, v8, s14, 0
	v_lshlrev_b32_e32 v2, 2, v2
	v_add_co_u32 v11, s0, s12, v11
	s_delay_alu instid0(VALU_DEP_1) | instskip(NEXT) | instid1(VALU_DEP_4)
	v_add_co_ci_u32_e64 v12, null, s13, 0, s0
	v_mov_b32_e32 v1, v5
	global_load_b64 v[2:3], v2, s[4:5]
	s_cselect_b32 s4, -1, 0
	s_cmp_lg_u32 s16, 1
	s_cselect_b32 s5, -1, 0
	s_cmp_eq_u32 s20, 0
	s_cselect_b32 s1, -1, 0
	s_delay_alu instid0(SALU_CYCLE_1) | instskip(SKIP_1) | instid1(VALU_DEP_1)
	v_cndmask_b32_e64 v18, 0, 1, s1
	s_and_b32 s1, s1, exec_lo
	v_lshlrev_b32_e32 v17, v18, v17
	s_waitcnt vmcnt(0)
	v_mad_u64_u32 v[9:10], null, v8, s15, v[1:2]
	v_and_b32_e32 v6, 15, v0
	v_lshrrev_b32_e32 v0, 4, v0
	v_subrev_nc_u32_e32 v15, s17, v2
	v_subrev_nc_u32_e32 v16, s17, v3
	v_cmp_lt_i32_e64 s0, v2, v3
	v_mov_b32_e32 v5, v9
	v_mul_u32_u24_e32 v1, 48, v0
	v_lshlrev_b32_e32 v7, 6, v0
	s_delay_alu instid0(VALU_DEP_2) | instskip(NEXT) | instid1(VALU_DEP_4)
	v_or_b32_e32 v8, 0x100, v1
	v_lshlrev_b64 v[0:1], 2, v[4:5]
	s_delay_alu instid0(VALU_DEP_3) | instskip(NEXT) | instid1(VALU_DEP_3)
	v_lshl_or_b32 v9, v6, 2, v7
	v_mad_u32_u24 v10, v6, 3, v8
	s_delay_alu instid0(VALU_DEP_3) | instskip(NEXT) | instid1(VALU_DEP_4)
	v_add_co_u32 v13, vcc_lo, s12, v0
	v_add_co_ci_u32_e32 v14, vcc_lo, s13, v1, vcc_lo
	s_mov_b32 s12, 0
	s_cselect_b32 s13, 1, 2
	s_branch .LBB82_13
.LBB82_12:                              ;   in Loop: Header=BB82_13 Depth=1
	s_or_b32 exec_lo, exec_lo, s1
	s_add_i32 s12, s12, 16
	s_delay_alu instid0(SALU_CYCLE_1)
	s_cmp_lt_i32 s12, s22
	s_cbranch_scc0 .LBB82_34
.LBB82_13:                              ; =>This Loop Header: Depth=1
                                        ;     Child Loop BB82_16 Depth 2
                                        ;       Child Loop BB82_20 Depth 3
	v_or_b32_e32 v0, s12, v6
	v_mov_b32_e32 v18, 0
	s_delay_alu instid0(VALU_DEP_2)
	v_ashrrev_i32_e32 v1, 31, v0
	s_and_saveexec_b32 s16, s0
	s_cbranch_execz .LBB82_22
; %bb.14:                               ;   in Loop: Header=BB82_13 Depth=1
	v_add_co_u32 v2, s1, s10, v0
	v_cmp_gt_i32_e32 vcc_lo, s22, v0
	v_add_co_ci_u32_e64 v3, s1, s11, v1, s1
	v_dual_mov_b32 v18, 0 :: v_dual_mov_b32 v19, v15
	s_mov_b32 s20, 0
	s_branch .LBB82_16
.LBB82_15:                              ;   in Loop: Header=BB82_16 Depth=2
	s_or_b32 exec_lo, exec_lo, s1
	v_add_nc_u32_e32 v19, 16, v19
	s_delay_alu instid0(VALU_DEP_1) | instskip(NEXT) | instid1(VALU_DEP_1)
	v_cmp_ge_i32_e64 s1, v19, v16
	s_or_b32 s20, s1, s20
	s_delay_alu instid0(SALU_CYCLE_1)
	s_and_not1_b32 exec_lo, exec_lo, s20
	s_cbranch_execz .LBB82_21
.LBB82_16:                              ;   Parent Loop BB82_13 Depth=1
                                        ; =>  This Loop Header: Depth=2
                                        ;       Child Loop BB82_20 Depth 3
	s_delay_alu instid0(VALU_DEP_1) | instskip(SKIP_2) | instid1(VALU_DEP_2)
	v_dual_mov_b32 v21, 0 :: v_dual_add_nc_u32 v4, v19, v6
	v_dual_mov_b32 v5, 0 :: v_dual_mov_b32 v20, 0
	s_mov_b32 s21, exec_lo
	v_cmpx_lt_i32_e64 v4, v16
	s_cbranch_execz .LBB82_18
; %bb.17:                               ;   in Loop: Header=BB82_16 Depth=2
	v_ashrrev_i32_e32 v5, 31, v4
	s_delay_alu instid0(VALU_DEP_1) | instskip(SKIP_1) | instid1(VALU_DEP_2)
	v_lshlrev_b64 v[20:21], 2, v[4:5]
	v_lshl_or_b32 v4, v4, 2, v17
	v_add_co_u32 v20, s1, s6, v20
	s_delay_alu instid0(VALU_DEP_1)
	v_add_co_ci_u32_e64 v21, s1, s7, v21, s1
	global_load_b32 v21, v[20:21], off
	v_or_b32_e32 v20, s13, v4
	s_clause 0x1
	global_load_u8 v5, v4, s[8:9]
	global_load_u8 v20, v20, s[8:9]
	s_waitcnt vmcnt(2)
	v_subrev_nc_u32_e32 v4, s17, v21
	s_delay_alu instid0(VALU_DEP_1)
	v_lshlrev_b32_e32 v21, 1, v4
.LBB82_18:                              ;   in Loop: Header=BB82_16 Depth=2
	s_or_b32 exec_lo, exec_lo, s21
	ds_store_b32 v9, v21
	s_waitcnt vmcnt(1)
	ds_store_b8 v10, v5
	s_waitcnt vmcnt(0)
	ds_store_b8 v10, v20 offset:1
	s_waitcnt lgkmcnt(0)
	s_waitcnt_vscnt null, 0x0
	s_barrier
	buffer_gl0_inv
	s_and_saveexec_b32 s1, vcc_lo
	s_cbranch_execz .LBB82_15
; %bb.19:                               ;   in Loop: Header=BB82_16 Depth=2
	v_mov_b32_e32 v4, v8
	s_mov_b32 s21, 0
.LBB82_20:                              ;   Parent Loop BB82_13 Depth=1
                                        ;     Parent Loop BB82_16 Depth=2
                                        ; =>    This Inner Loop Header: Depth=3
	s_delay_alu instid0(SALU_CYCLE_1) | instskip(SKIP_1) | instid1(SALU_CYCLE_1)
	v_add_nc_u32_e32 v5, s21, v7
	s_add_i32 s21, s21, 8
	s_cmp_lg_u32 s21, 64
	ds_load_b64 v[20:21], v5
	s_waitcnt lgkmcnt(0)
	v_add_nc_u32_e32 v26, 1, v20
	v_add_nc_u32_e32 v30, 1, v21
	v_ashrrev_i32_e32 v5, 31, v20
	v_ashrrev_i32_e32 v27, 31, v21
	v_mul_lo_u32 v28, v20, s3
	v_ashrrev_i32_e32 v31, 31, v26
	v_ashrrev_i32_e32 v34, 31, v30
	v_mad_u64_u32 v[22:23], null, v20, s2, v[2:3]
	v_mul_lo_u32 v5, v5, s2
	v_mul_lo_u32 v29, v21, s3
	v_mad_u64_u32 v[24:25], null, v21, s2, v[2:3]
	v_mul_lo_u32 v32, v26, s3
	v_mad_u64_u32 v[20:21], null, v26, s2, v[2:3]
	v_mul_lo_u32 v33, v27, s2
	v_mul_lo_u32 v35, v30, s3
	v_mad_u64_u32 v[26:27], null, v30, s2, v[2:3]
	v_mul_lo_u32 v30, v31, s2
	v_mul_lo_u32 v31, v34, s2
	v_add3_u32 v23, v5, v23, v28
	v_add3_u32 v25, v33, v25, v29
	s_delay_alu instid0(VALU_DEP_4) | instskip(NEXT) | instid1(VALU_DEP_4)
	v_add3_u32 v21, v30, v21, v32
	v_add3_u32 v27, v31, v27, v35
	s_clause 0x3
	global_load_i8 v5, v[22:23], off
	global_load_i8 v20, v[20:21], off
	;; [unrolled: 1-line block ×4, first 2 shown]
	ds_load_u16 v23, v4
	ds_load_i8 v24, v4 offset:3
	ds_load_i8 v25, v4 offset:4
	v_add_nc_u32_e32 v4, 6, v4
	s_waitcnt lgkmcnt(2)
	v_perm_b32 v23, v23, v23, 0xc0c0100
	s_waitcnt lgkmcnt(0)
	v_perm_b32 v24, v25, v24, 0x4000c0c
	s_waitcnt vmcnt(2)
	v_perm_b32 v5, v20, v5, 0xc0c0400
	s_waitcnt vmcnt(0)
	v_perm_b32 v20, v22, v21, 0x4000c0c
	v_or_b32_e32 v21, v24, v23
	s_delay_alu instid0(VALU_DEP_2) | instskip(NEXT) | instid1(VALU_DEP_1)
	v_or_b32_e32 v5, v20, v5
	v_dot4_i32_iu8 v18, v21, v5, v18 neg_lo:[1,1,0]
	s_cbranch_scc1 .LBB82_20
	s_branch .LBB82_15
.LBB82_21:                              ;   in Loop: Header=BB82_13 Depth=1
	s_or_b32 exec_lo, exec_lo, s20
.LBB82_22:                              ;   in Loop: Header=BB82_13 Depth=1
	s_delay_alu instid0(SALU_CYCLE_1) | instskip(NEXT) | instid1(SALU_CYCLE_1)
	s_or_b32 exec_lo, exec_lo, s16
	s_mov_b32 s1, exec_lo
	v_cmpx_gt_i32_e64 s22, v0
	s_cbranch_execz .LBB82_12
; %bb.23:                               ;   in Loop: Header=BB82_13 Depth=1
	s_and_b32 vcc_lo, exec_lo, s4
	s_cbranch_vccz .LBB82_29
; %bb.24:                               ;   in Loop: Header=BB82_13 Depth=1
	s_and_b32 vcc_lo, exec_lo, s5
	s_mov_b32 s16, -1
	s_cbranch_vccz .LBB82_26
; %bb.25:                               ;   in Loop: Header=BB82_13 Depth=1
	v_lshlrev_b64 v[2:3], 2, v[0:1]
	v_mul_lo_u32 v4, v18, s18
	s_mov_b32 s16, 0
	s_delay_alu instid0(VALU_DEP_2) | instskip(NEXT) | instid1(VALU_DEP_3)
	v_add_co_u32 v2, vcc_lo, v13, v2
	v_add_co_ci_u32_e32 v3, vcc_lo, v14, v3, vcc_lo
	global_load_b32 v5, v[2:3], off
	s_waitcnt vmcnt(0)
	v_mad_u64_u32 v[19:20], null, v5, s19, v[4:5]
	global_store_b32 v[2:3], v19, off
.LBB82_26:                              ;   in Loop: Header=BB82_13 Depth=1
	s_and_not1_b32 vcc_lo, exec_lo, s16
	s_cbranch_vccnz .LBB82_28
; %bb.27:                               ;   in Loop: Header=BB82_13 Depth=1
	v_mul_lo_u32 v4, v1, s14
	v_mul_lo_u32 v5, v0, s15
	v_mad_u64_u32 v[2:3], null, v0, s14, 0
	s_delay_alu instid0(VALU_DEP_1) | instskip(SKIP_1) | instid1(VALU_DEP_2)
	v_add3_u32 v3, v3, v5, v4
	v_mul_lo_u32 v4, v18, s18
	v_lshlrev_b64 v[2:3], 2, v[2:3]
	s_delay_alu instid0(VALU_DEP_1) | instskip(NEXT) | instid1(VALU_DEP_2)
	v_add_co_u32 v2, vcc_lo, v11, v2
	v_add_co_ci_u32_e32 v3, vcc_lo, v12, v3, vcc_lo
	global_load_b32 v5, v[2:3], off
	s_waitcnt vmcnt(0)
	v_mad_u64_u32 v[19:20], null, v5, s19, v[4:5]
	global_store_b32 v[2:3], v19, off
.LBB82_28:                              ;   in Loop: Header=BB82_13 Depth=1
	s_cbranch_execnz .LBB82_12
	s_branch .LBB82_30
.LBB82_29:                              ;   in Loop: Header=BB82_13 Depth=1
.LBB82_30:                              ;   in Loop: Header=BB82_13 Depth=1
	v_mul_lo_u32 v2, v18, s18
	s_and_b32 vcc_lo, exec_lo, s5
	s_mov_b32 s16, -1
	s_cbranch_vccz .LBB82_32
; %bb.31:                               ;   in Loop: Header=BB82_13 Depth=1
	v_lshlrev_b64 v[3:4], 2, v[0:1]
	s_mov_b32 s16, 0
	s_delay_alu instid0(VALU_DEP_1) | instskip(NEXT) | instid1(VALU_DEP_2)
	v_add_co_u32 v3, vcc_lo, v13, v3
	v_add_co_ci_u32_e32 v4, vcc_lo, v14, v4, vcc_lo
	global_store_b32 v[3:4], v2, off
.LBB82_32:                              ;   in Loop: Header=BB82_13 Depth=1
	s_and_not1_b32 vcc_lo, exec_lo, s16
	s_cbranch_vccnz .LBB82_12
; %bb.33:                               ;   in Loop: Header=BB82_13 Depth=1
	v_mul_lo_u32 v1, v1, s14
	v_mul_lo_u32 v5, v0, s15
	v_mad_u64_u32 v[3:4], null, v0, s14, 0
	s_delay_alu instid0(VALU_DEP_1) | instskip(NEXT) | instid1(VALU_DEP_1)
	v_add3_u32 v4, v4, v5, v1
	v_lshlrev_b64 v[0:1], 2, v[3:4]
	s_delay_alu instid0(VALU_DEP_1) | instskip(NEXT) | instid1(VALU_DEP_2)
	v_add_co_u32 v0, vcc_lo, v11, v0
	v_add_co_ci_u32_e32 v1, vcc_lo, v12, v1, vcc_lo
	global_store_b32 v[0:1], v2, off
	s_branch .LBB82_12
.LBB82_34:
	s_nop 0
	s_sendmsg sendmsg(MSG_DEALLOC_VGPRS)
	s_endpgm
	.section	.rodata,"a",@progbits
	.p2align	6, 0x0
	.amdhsa_kernel _ZN9rocsparseL29bsrmmnt_small_blockdim_kernelILj64ELj16ELj2EiiaaiiEEv20rocsparse_direction_T3_S2_llNS_24const_host_device_scalarIT7_EEPKT2_PKS2_PKT4_PKT5_llS5_PT6_ll16rocsparse_order_21rocsparse_index_base_b
		.amdhsa_group_segment_fixed_size 448
		.amdhsa_private_segment_fixed_size 0
		.amdhsa_kernarg_size 392
		.amdhsa_user_sgpr_count 15
		.amdhsa_user_sgpr_dispatch_ptr 0
		.amdhsa_user_sgpr_queue_ptr 0
		.amdhsa_user_sgpr_kernarg_segment_ptr 1
		.amdhsa_user_sgpr_dispatch_id 0
		.amdhsa_user_sgpr_private_segment_size 0
		.amdhsa_wavefront_size32 1
		.amdhsa_uses_dynamic_stack 0
		.amdhsa_enable_private_segment 0
		.amdhsa_system_sgpr_workgroup_id_x 1
		.amdhsa_system_sgpr_workgroup_id_y 0
		.amdhsa_system_sgpr_workgroup_id_z 0
		.amdhsa_system_sgpr_workgroup_info 0
		.amdhsa_system_vgpr_workitem_id 0
		.amdhsa_next_free_vgpr 36
		.amdhsa_next_free_sgpr 24
		.amdhsa_reserve_vcc 1
		.amdhsa_float_round_mode_32 0
		.amdhsa_float_round_mode_16_64 0
		.amdhsa_float_denorm_mode_32 3
		.amdhsa_float_denorm_mode_16_64 3
		.amdhsa_dx10_clamp 1
		.amdhsa_ieee_mode 1
		.amdhsa_fp16_overflow 0
		.amdhsa_workgroup_processor_mode 1
		.amdhsa_memory_ordered 1
		.amdhsa_forward_progress 0
		.amdhsa_shared_vgpr_count 0
		.amdhsa_exception_fp_ieee_invalid_op 0
		.amdhsa_exception_fp_denorm_src 0
		.amdhsa_exception_fp_ieee_div_zero 0
		.amdhsa_exception_fp_ieee_overflow 0
		.amdhsa_exception_fp_ieee_underflow 0
		.amdhsa_exception_fp_ieee_inexact 0
		.amdhsa_exception_int_div_zero 0
	.end_amdhsa_kernel
	.section	.text._ZN9rocsparseL29bsrmmnt_small_blockdim_kernelILj64ELj16ELj2EiiaaiiEEv20rocsparse_direction_T3_S2_llNS_24const_host_device_scalarIT7_EEPKT2_PKS2_PKT4_PKT5_llS5_PT6_ll16rocsparse_order_21rocsparse_index_base_b,"axG",@progbits,_ZN9rocsparseL29bsrmmnt_small_blockdim_kernelILj64ELj16ELj2EiiaaiiEEv20rocsparse_direction_T3_S2_llNS_24const_host_device_scalarIT7_EEPKT2_PKS2_PKT4_PKT5_llS5_PT6_ll16rocsparse_order_21rocsparse_index_base_b,comdat
.Lfunc_end82:
	.size	_ZN9rocsparseL29bsrmmnt_small_blockdim_kernelILj64ELj16ELj2EiiaaiiEEv20rocsparse_direction_T3_S2_llNS_24const_host_device_scalarIT7_EEPKT2_PKS2_PKT4_PKT5_llS5_PT6_ll16rocsparse_order_21rocsparse_index_base_b, .Lfunc_end82-_ZN9rocsparseL29bsrmmnt_small_blockdim_kernelILj64ELj16ELj2EiiaaiiEEv20rocsparse_direction_T3_S2_llNS_24const_host_device_scalarIT7_EEPKT2_PKS2_PKT4_PKT5_llS5_PT6_ll16rocsparse_order_21rocsparse_index_base_b
                                        ; -- End function
	.section	.AMDGPU.csdata,"",@progbits
; Kernel info:
; codeLenInByte = 1540
; NumSgprs: 26
; NumVgprs: 36
; ScratchSize: 0
; MemoryBound: 0
; FloatMode: 240
; IeeeMode: 1
; LDSByteSize: 448 bytes/workgroup (compile time only)
; SGPRBlocks: 3
; VGPRBlocks: 4
; NumSGPRsForWavesPerEU: 26
; NumVGPRsForWavesPerEU: 36
; Occupancy: 16
; WaveLimiterHint : 0
; COMPUTE_PGM_RSRC2:SCRATCH_EN: 0
; COMPUTE_PGM_RSRC2:USER_SGPR: 15
; COMPUTE_PGM_RSRC2:TRAP_HANDLER: 0
; COMPUTE_PGM_RSRC2:TGID_X_EN: 1
; COMPUTE_PGM_RSRC2:TGID_Y_EN: 0
; COMPUTE_PGM_RSRC2:TGID_Z_EN: 0
; COMPUTE_PGM_RSRC2:TIDIG_COMP_CNT: 0
	.section	.text._ZN9rocsparseL29bsrmmnt_small_blockdim_kernelILj64ELj32ELj2EiiaaiiEEv20rocsparse_direction_T3_S2_llNS_24const_host_device_scalarIT7_EEPKT2_PKS2_PKT4_PKT5_llS5_PT6_ll16rocsparse_order_21rocsparse_index_base_b,"axG",@progbits,_ZN9rocsparseL29bsrmmnt_small_blockdim_kernelILj64ELj32ELj2EiiaaiiEEv20rocsparse_direction_T3_S2_llNS_24const_host_device_scalarIT7_EEPKT2_PKS2_PKT4_PKT5_llS5_PT6_ll16rocsparse_order_21rocsparse_index_base_b,comdat
	.globl	_ZN9rocsparseL29bsrmmnt_small_blockdim_kernelILj64ELj32ELj2EiiaaiiEEv20rocsparse_direction_T3_S2_llNS_24const_host_device_scalarIT7_EEPKT2_PKS2_PKT4_PKT5_llS5_PT6_ll16rocsparse_order_21rocsparse_index_base_b ; -- Begin function _ZN9rocsparseL29bsrmmnt_small_blockdim_kernelILj64ELj32ELj2EiiaaiiEEv20rocsparse_direction_T3_S2_llNS_24const_host_device_scalarIT7_EEPKT2_PKS2_PKT4_PKT5_llS5_PT6_ll16rocsparse_order_21rocsparse_index_base_b
	.p2align	8
	.type	_ZN9rocsparseL29bsrmmnt_small_blockdim_kernelILj64ELj32ELj2EiiaaiiEEv20rocsparse_direction_T3_S2_llNS_24const_host_device_scalarIT7_EEPKT2_PKS2_PKT4_PKT5_llS5_PT6_ll16rocsparse_order_21rocsparse_index_base_b,@function
_ZN9rocsparseL29bsrmmnt_small_blockdim_kernelILj64ELj32ELj2EiiaaiiEEv20rocsparse_direction_T3_S2_llNS_24const_host_device_scalarIT7_EEPKT2_PKS2_PKT4_PKT5_llS5_PT6_ll16rocsparse_order_21rocsparse_index_base_b: ; @_ZN9rocsparseL29bsrmmnt_small_blockdim_kernelILj64ELj32ELj2EiiaaiiEEv20rocsparse_direction_T3_S2_llNS_24const_host_device_scalarIT7_EEPKT2_PKS2_PKT4_PKT5_llS5_PT6_ll16rocsparse_order_21rocsparse_index_base_b
; %bb.0:
	s_clause 0x1
	s_load_b128 s[16:19], s[0:1], 0x78
	s_load_b64 s[4:5], s[0:1], 0x20
	s_mov_b32 s7, -1
	s_waitcnt lgkmcnt(0)
	s_bitcmp1_b32 s18, 0
                                        ; implicit-def: $sgpr18
	s_cselect_b32 s2, -1, 0
	s_delay_alu instid0(SALU_CYCLE_1) | instskip(NEXT) | instid1(SALU_CYCLE_1)
	s_xor_b32 s6, s2, -1
	s_and_b32 vcc_lo, exec_lo, s6
	s_cbranch_vccnz .LBB83_4
; %bb.1:
	s_load_b64 s[2:3], s[0:1], 0x58
	s_and_not1_b32 vcc_lo, exec_lo, s7
	s_cbranch_vccz .LBB83_5
.LBB83_2:
	s_and_b32 vcc_lo, exec_lo, s6
	s_cbranch_vccz .LBB83_6
.LBB83_3:
	s_waitcnt lgkmcnt(0)
	s_load_b32 s19, s[2:3], 0x0
	s_cbranch_execz .LBB83_7
	s_branch .LBB83_8
.LBB83_4:
	s_load_b32 s18, s[4:5], 0x0
	s_load_b64 s[2:3], s[0:1], 0x58
	s_cbranch_execnz .LBB83_2
.LBB83_5:
	s_waitcnt lgkmcnt(0)
	s_mov_b32 s18, s4
	s_and_b32 vcc_lo, exec_lo, s6
	s_cbranch_vccnz .LBB83_3
.LBB83_6:
	s_waitcnt lgkmcnt(0)
                                        ; implicit-def: $sgpr19
.LBB83_7:
	s_waitcnt lgkmcnt(0)
	s_mov_b32 s19, s2
.LBB83_8:
	s_cmp_eq_u32 s18, 0
	s_cselect_b32 s2, -1, 0
	s_waitcnt lgkmcnt(0)
	s_cmp_eq_u32 s19, 1
	s_cselect_b32 s3, -1, 0
	s_delay_alu instid0(SALU_CYCLE_1) | instskip(NEXT) | instid1(SALU_CYCLE_1)
	s_and_b32 s2, s2, s3
	s_and_b32 vcc_lo, exec_lo, s2
	s_cbranch_vccnz .LBB83_34
; %bb.9:
	s_clause 0x1
	s_load_b32 s2, s[0:1], 0x94
	s_load_b128 s[20:23], s[0:1], 0x0
	s_waitcnt lgkmcnt(0)
	s_and_b32 s2, s2, 0xffff
	s_delay_alu instid0(SALU_CYCLE_1) | instskip(SKIP_1) | instid1(VALU_DEP_1)
	v_mad_u64_u32 v[1:2], null, s15, s2, v[0:1]
	s_mov_b32 s2, exec_lo
	v_lshrrev_b32_e32 v2, 6, v1
	s_delay_alu instid0(VALU_DEP_1)
	v_cmpx_gt_i32_e64 s21, v2
	s_cbranch_execz .LBB83_34
; %bb.10:
	s_cmp_lt_i32 s22, 1
	s_cbranch_scc1 .LBB83_34
; %bb.11:
	s_clause 0x2
	s_load_b128 s[12:15], s[0:1], 0x60
	s_load_b64 s[2:3], s[0:1], 0x48
	s_load_b256 s[4:11], s[0:1], 0x28
	v_lshrrev_b32_e32 v8, 5, v1
	v_bfe_u32 v17, v1, 5, 1
	s_cmp_lg_u32 s19, 0
	s_delay_alu instid0(VALU_DEP_2) | instskip(SKIP_3) | instid1(VALU_DEP_3)
	v_lshlrev_b32_e32 v11, 2, v8
	s_waitcnt lgkmcnt(0)
	v_mad_u64_u32 v[4:5], null, v8, s14, 0
	v_lshlrev_b32_e32 v2, 2, v2
	v_add_co_u32 v11, s0, s12, v11
	s_delay_alu instid0(VALU_DEP_1) | instskip(NEXT) | instid1(VALU_DEP_4)
	v_add_co_ci_u32_e64 v12, null, s13, 0, s0
	v_mov_b32_e32 v1, v5
	global_load_b64 v[2:3], v2, s[4:5]
	s_cselect_b32 s4, -1, 0
	s_cmp_lg_u32 s16, 1
	s_cselect_b32 s5, -1, 0
	s_cmp_eq_u32 s20, 0
	s_cselect_b32 s1, -1, 0
	s_delay_alu instid0(SALU_CYCLE_1) | instskip(SKIP_1) | instid1(VALU_DEP_1)
	v_cndmask_b32_e64 v18, 0, 1, s1
	s_and_b32 s1, s1, exec_lo
	v_lshlrev_b32_e32 v17, v18, v17
	s_waitcnt vmcnt(0)
	v_mad_u64_u32 v[9:10], null, v8, s15, v[1:2]
	v_and_b32_e32 v6, 31, v0
	v_lshrrev_b32_e32 v0, 5, v0
	v_subrev_nc_u32_e32 v15, s17, v2
	v_subrev_nc_u32_e32 v16, s17, v3
	v_cmp_lt_i32_e64 s0, v2, v3
	v_mov_b32_e32 v5, v9
	v_mul_u32_u24_e32 v1, 0x60, v0
	v_lshlrev_b32_e32 v7, 7, v0
	s_delay_alu instid0(VALU_DEP_2) | instskip(NEXT) | instid1(VALU_DEP_4)
	v_or_b32_e32 v8, 0x100, v1
	v_lshlrev_b64 v[0:1], 2, v[4:5]
	s_delay_alu instid0(VALU_DEP_3) | instskip(NEXT) | instid1(VALU_DEP_3)
	v_lshl_or_b32 v9, v6, 2, v7
	v_mad_u32_u24 v10, v6, 3, v8
	s_delay_alu instid0(VALU_DEP_3) | instskip(NEXT) | instid1(VALU_DEP_4)
	v_add_co_u32 v13, vcc_lo, s12, v0
	v_add_co_ci_u32_e32 v14, vcc_lo, s13, v1, vcc_lo
	s_mov_b32 s12, 0
	s_cselect_b32 s13, 1, 2
	s_branch .LBB83_13
.LBB83_12:                              ;   in Loop: Header=BB83_13 Depth=1
	s_or_b32 exec_lo, exec_lo, s1
	s_add_i32 s12, s12, 32
	s_delay_alu instid0(SALU_CYCLE_1)
	s_cmp_lt_i32 s12, s22
	s_cbranch_scc0 .LBB83_34
.LBB83_13:                              ; =>This Loop Header: Depth=1
                                        ;     Child Loop BB83_16 Depth 2
                                        ;       Child Loop BB83_20 Depth 3
	v_or_b32_e32 v0, s12, v6
	v_mov_b32_e32 v18, 0
	s_delay_alu instid0(VALU_DEP_2)
	v_ashrrev_i32_e32 v1, 31, v0
	s_and_saveexec_b32 s16, s0
	s_cbranch_execz .LBB83_22
; %bb.14:                               ;   in Loop: Header=BB83_13 Depth=1
	v_add_co_u32 v2, s1, s10, v0
	v_cmp_gt_i32_e32 vcc_lo, s22, v0
	v_add_co_ci_u32_e64 v3, s1, s11, v1, s1
	v_dual_mov_b32 v18, 0 :: v_dual_mov_b32 v19, v15
	s_mov_b32 s20, 0
	s_branch .LBB83_16
.LBB83_15:                              ;   in Loop: Header=BB83_16 Depth=2
	s_or_b32 exec_lo, exec_lo, s1
	v_add_nc_u32_e32 v19, 32, v19
	s_delay_alu instid0(VALU_DEP_1) | instskip(NEXT) | instid1(VALU_DEP_1)
	v_cmp_ge_i32_e64 s1, v19, v16
	s_or_b32 s20, s1, s20
	s_delay_alu instid0(SALU_CYCLE_1)
	s_and_not1_b32 exec_lo, exec_lo, s20
	s_cbranch_execz .LBB83_21
.LBB83_16:                              ;   Parent Loop BB83_13 Depth=1
                                        ; =>  This Loop Header: Depth=2
                                        ;       Child Loop BB83_20 Depth 3
	s_delay_alu instid0(VALU_DEP_1) | instskip(SKIP_2) | instid1(VALU_DEP_2)
	v_dual_mov_b32 v21, 0 :: v_dual_add_nc_u32 v4, v19, v6
	v_dual_mov_b32 v5, 0 :: v_dual_mov_b32 v20, 0
	s_mov_b32 s21, exec_lo
	v_cmpx_lt_i32_e64 v4, v16
	s_cbranch_execz .LBB83_18
; %bb.17:                               ;   in Loop: Header=BB83_16 Depth=2
	v_ashrrev_i32_e32 v5, 31, v4
	s_delay_alu instid0(VALU_DEP_1) | instskip(SKIP_1) | instid1(VALU_DEP_2)
	v_lshlrev_b64 v[20:21], 2, v[4:5]
	v_lshl_or_b32 v4, v4, 2, v17
	v_add_co_u32 v20, s1, s6, v20
	s_delay_alu instid0(VALU_DEP_1)
	v_add_co_ci_u32_e64 v21, s1, s7, v21, s1
	global_load_b32 v21, v[20:21], off
	v_or_b32_e32 v20, s13, v4
	s_clause 0x1
	global_load_u8 v5, v4, s[8:9]
	global_load_u8 v20, v20, s[8:9]
	s_waitcnt vmcnt(2)
	v_subrev_nc_u32_e32 v4, s17, v21
	s_delay_alu instid0(VALU_DEP_1)
	v_lshlrev_b32_e32 v21, 1, v4
.LBB83_18:                              ;   in Loop: Header=BB83_16 Depth=2
	s_or_b32 exec_lo, exec_lo, s21
	ds_store_b32 v9, v21
	s_waitcnt vmcnt(1)
	ds_store_b8 v10, v5
	s_waitcnt vmcnt(0)
	ds_store_b8 v10, v20 offset:1
	s_waitcnt lgkmcnt(0)
	s_waitcnt_vscnt null, 0x0
	s_barrier
	buffer_gl0_inv
	s_and_saveexec_b32 s1, vcc_lo
	s_cbranch_execz .LBB83_15
; %bb.19:                               ;   in Loop: Header=BB83_16 Depth=2
	v_mov_b32_e32 v4, v8
	s_mov_b32 s21, 0
.LBB83_20:                              ;   Parent Loop BB83_13 Depth=1
                                        ;     Parent Loop BB83_16 Depth=2
                                        ; =>    This Inner Loop Header: Depth=3
	s_delay_alu instid0(SALU_CYCLE_1) | instskip(SKIP_1) | instid1(SALU_CYCLE_1)
	v_add_nc_u32_e32 v5, s21, v7
	s_add_i32 s21, s21, 8
	s_cmpk_lg_i32 s21, 0x80
	ds_load_b64 v[20:21], v5
	s_waitcnt lgkmcnt(0)
	v_add_nc_u32_e32 v26, 1, v20
	v_add_nc_u32_e32 v30, 1, v21
	v_ashrrev_i32_e32 v5, 31, v20
	v_ashrrev_i32_e32 v27, 31, v21
	v_mul_lo_u32 v28, v20, s3
	v_ashrrev_i32_e32 v31, 31, v26
	v_ashrrev_i32_e32 v34, 31, v30
	v_mad_u64_u32 v[22:23], null, v20, s2, v[2:3]
	v_mul_lo_u32 v5, v5, s2
	v_mul_lo_u32 v29, v21, s3
	v_mad_u64_u32 v[24:25], null, v21, s2, v[2:3]
	v_mul_lo_u32 v32, v26, s3
	v_mad_u64_u32 v[20:21], null, v26, s2, v[2:3]
	v_mul_lo_u32 v33, v27, s2
	v_mul_lo_u32 v35, v30, s3
	v_mad_u64_u32 v[26:27], null, v30, s2, v[2:3]
	v_mul_lo_u32 v30, v31, s2
	v_mul_lo_u32 v31, v34, s2
	v_add3_u32 v23, v5, v23, v28
	v_add3_u32 v25, v33, v25, v29
	s_delay_alu instid0(VALU_DEP_4) | instskip(NEXT) | instid1(VALU_DEP_4)
	v_add3_u32 v21, v30, v21, v32
	v_add3_u32 v27, v31, v27, v35
	s_clause 0x3
	global_load_i8 v5, v[22:23], off
	global_load_i8 v20, v[20:21], off
	;; [unrolled: 1-line block ×4, first 2 shown]
	ds_load_u16 v23, v4
	ds_load_i8 v24, v4 offset:3
	ds_load_i8 v25, v4 offset:4
	v_add_nc_u32_e32 v4, 6, v4
	s_waitcnt lgkmcnt(2)
	v_perm_b32 v23, v23, v23, 0xc0c0100
	s_waitcnt lgkmcnt(0)
	v_perm_b32 v24, v25, v24, 0x4000c0c
	s_waitcnt vmcnt(2)
	v_perm_b32 v5, v20, v5, 0xc0c0400
	s_waitcnt vmcnt(0)
	v_perm_b32 v20, v22, v21, 0x4000c0c
	v_or_b32_e32 v21, v24, v23
	s_delay_alu instid0(VALU_DEP_2) | instskip(NEXT) | instid1(VALU_DEP_1)
	v_or_b32_e32 v5, v20, v5
	v_dot4_i32_iu8 v18, v21, v5, v18 neg_lo:[1,1,0]
	s_cbranch_scc1 .LBB83_20
	s_branch .LBB83_15
.LBB83_21:                              ;   in Loop: Header=BB83_13 Depth=1
	s_or_b32 exec_lo, exec_lo, s20
.LBB83_22:                              ;   in Loop: Header=BB83_13 Depth=1
	s_delay_alu instid0(SALU_CYCLE_1) | instskip(NEXT) | instid1(SALU_CYCLE_1)
	s_or_b32 exec_lo, exec_lo, s16
	s_mov_b32 s1, exec_lo
	v_cmpx_gt_i32_e64 s22, v0
	s_cbranch_execz .LBB83_12
; %bb.23:                               ;   in Loop: Header=BB83_13 Depth=1
	s_and_b32 vcc_lo, exec_lo, s4
	s_cbranch_vccz .LBB83_29
; %bb.24:                               ;   in Loop: Header=BB83_13 Depth=1
	s_and_b32 vcc_lo, exec_lo, s5
	s_mov_b32 s16, -1
	s_cbranch_vccz .LBB83_26
; %bb.25:                               ;   in Loop: Header=BB83_13 Depth=1
	v_lshlrev_b64 v[2:3], 2, v[0:1]
	v_mul_lo_u32 v4, v18, s18
	s_mov_b32 s16, 0
	s_delay_alu instid0(VALU_DEP_2) | instskip(NEXT) | instid1(VALU_DEP_3)
	v_add_co_u32 v2, vcc_lo, v13, v2
	v_add_co_ci_u32_e32 v3, vcc_lo, v14, v3, vcc_lo
	global_load_b32 v5, v[2:3], off
	s_waitcnt vmcnt(0)
	v_mad_u64_u32 v[19:20], null, v5, s19, v[4:5]
	global_store_b32 v[2:3], v19, off
.LBB83_26:                              ;   in Loop: Header=BB83_13 Depth=1
	s_and_not1_b32 vcc_lo, exec_lo, s16
	s_cbranch_vccnz .LBB83_28
; %bb.27:                               ;   in Loop: Header=BB83_13 Depth=1
	v_mul_lo_u32 v4, v1, s14
	v_mul_lo_u32 v5, v0, s15
	v_mad_u64_u32 v[2:3], null, v0, s14, 0
	s_delay_alu instid0(VALU_DEP_1) | instskip(SKIP_1) | instid1(VALU_DEP_2)
	v_add3_u32 v3, v3, v5, v4
	v_mul_lo_u32 v4, v18, s18
	v_lshlrev_b64 v[2:3], 2, v[2:3]
	s_delay_alu instid0(VALU_DEP_1) | instskip(NEXT) | instid1(VALU_DEP_2)
	v_add_co_u32 v2, vcc_lo, v11, v2
	v_add_co_ci_u32_e32 v3, vcc_lo, v12, v3, vcc_lo
	global_load_b32 v5, v[2:3], off
	s_waitcnt vmcnt(0)
	v_mad_u64_u32 v[19:20], null, v5, s19, v[4:5]
	global_store_b32 v[2:3], v19, off
.LBB83_28:                              ;   in Loop: Header=BB83_13 Depth=1
	s_cbranch_execnz .LBB83_12
	s_branch .LBB83_30
.LBB83_29:                              ;   in Loop: Header=BB83_13 Depth=1
.LBB83_30:                              ;   in Loop: Header=BB83_13 Depth=1
	v_mul_lo_u32 v2, v18, s18
	s_and_b32 vcc_lo, exec_lo, s5
	s_mov_b32 s16, -1
	s_cbranch_vccz .LBB83_32
; %bb.31:                               ;   in Loop: Header=BB83_13 Depth=1
	v_lshlrev_b64 v[3:4], 2, v[0:1]
	s_mov_b32 s16, 0
	s_delay_alu instid0(VALU_DEP_1) | instskip(NEXT) | instid1(VALU_DEP_2)
	v_add_co_u32 v3, vcc_lo, v13, v3
	v_add_co_ci_u32_e32 v4, vcc_lo, v14, v4, vcc_lo
	global_store_b32 v[3:4], v2, off
.LBB83_32:                              ;   in Loop: Header=BB83_13 Depth=1
	s_and_not1_b32 vcc_lo, exec_lo, s16
	s_cbranch_vccnz .LBB83_12
; %bb.33:                               ;   in Loop: Header=BB83_13 Depth=1
	v_mul_lo_u32 v1, v1, s14
	v_mul_lo_u32 v5, v0, s15
	v_mad_u64_u32 v[3:4], null, v0, s14, 0
	s_delay_alu instid0(VALU_DEP_1) | instskip(NEXT) | instid1(VALU_DEP_1)
	v_add3_u32 v4, v4, v5, v1
	v_lshlrev_b64 v[0:1], 2, v[3:4]
	s_delay_alu instid0(VALU_DEP_1) | instskip(NEXT) | instid1(VALU_DEP_2)
	v_add_co_u32 v0, vcc_lo, v11, v0
	v_add_co_ci_u32_e32 v1, vcc_lo, v12, v1, vcc_lo
	global_store_b32 v[0:1], v2, off
	s_branch .LBB83_12
.LBB83_34:
	s_nop 0
	s_sendmsg sendmsg(MSG_DEALLOC_VGPRS)
	s_endpgm
	.section	.rodata,"a",@progbits
	.p2align	6, 0x0
	.amdhsa_kernel _ZN9rocsparseL29bsrmmnt_small_blockdim_kernelILj64ELj32ELj2EiiaaiiEEv20rocsparse_direction_T3_S2_llNS_24const_host_device_scalarIT7_EEPKT2_PKS2_PKT4_PKT5_llS5_PT6_ll16rocsparse_order_21rocsparse_index_base_b
		.amdhsa_group_segment_fixed_size 448
		.amdhsa_private_segment_fixed_size 0
		.amdhsa_kernarg_size 392
		.amdhsa_user_sgpr_count 15
		.amdhsa_user_sgpr_dispatch_ptr 0
		.amdhsa_user_sgpr_queue_ptr 0
		.amdhsa_user_sgpr_kernarg_segment_ptr 1
		.amdhsa_user_sgpr_dispatch_id 0
		.amdhsa_user_sgpr_private_segment_size 0
		.amdhsa_wavefront_size32 1
		.amdhsa_uses_dynamic_stack 0
		.amdhsa_enable_private_segment 0
		.amdhsa_system_sgpr_workgroup_id_x 1
		.amdhsa_system_sgpr_workgroup_id_y 0
		.amdhsa_system_sgpr_workgroup_id_z 0
		.amdhsa_system_sgpr_workgroup_info 0
		.amdhsa_system_vgpr_workitem_id 0
		.amdhsa_next_free_vgpr 36
		.amdhsa_next_free_sgpr 24
		.amdhsa_reserve_vcc 1
		.amdhsa_float_round_mode_32 0
		.amdhsa_float_round_mode_16_64 0
		.amdhsa_float_denorm_mode_32 3
		.amdhsa_float_denorm_mode_16_64 3
		.amdhsa_dx10_clamp 1
		.amdhsa_ieee_mode 1
		.amdhsa_fp16_overflow 0
		.amdhsa_workgroup_processor_mode 1
		.amdhsa_memory_ordered 1
		.amdhsa_forward_progress 0
		.amdhsa_shared_vgpr_count 0
		.amdhsa_exception_fp_ieee_invalid_op 0
		.amdhsa_exception_fp_denorm_src 0
		.amdhsa_exception_fp_ieee_div_zero 0
		.amdhsa_exception_fp_ieee_overflow 0
		.amdhsa_exception_fp_ieee_underflow 0
		.amdhsa_exception_fp_ieee_inexact 0
		.amdhsa_exception_int_div_zero 0
	.end_amdhsa_kernel
	.section	.text._ZN9rocsparseL29bsrmmnt_small_blockdim_kernelILj64ELj32ELj2EiiaaiiEEv20rocsparse_direction_T3_S2_llNS_24const_host_device_scalarIT7_EEPKT2_PKS2_PKT4_PKT5_llS5_PT6_ll16rocsparse_order_21rocsparse_index_base_b,"axG",@progbits,_ZN9rocsparseL29bsrmmnt_small_blockdim_kernelILj64ELj32ELj2EiiaaiiEEv20rocsparse_direction_T3_S2_llNS_24const_host_device_scalarIT7_EEPKT2_PKS2_PKT4_PKT5_llS5_PT6_ll16rocsparse_order_21rocsparse_index_base_b,comdat
.Lfunc_end83:
	.size	_ZN9rocsparseL29bsrmmnt_small_blockdim_kernelILj64ELj32ELj2EiiaaiiEEv20rocsparse_direction_T3_S2_llNS_24const_host_device_scalarIT7_EEPKT2_PKS2_PKT4_PKT5_llS5_PT6_ll16rocsparse_order_21rocsparse_index_base_b, .Lfunc_end83-_ZN9rocsparseL29bsrmmnt_small_blockdim_kernelILj64ELj32ELj2EiiaaiiEEv20rocsparse_direction_T3_S2_llNS_24const_host_device_scalarIT7_EEPKT2_PKS2_PKT4_PKT5_llS5_PT6_ll16rocsparse_order_21rocsparse_index_base_b
                                        ; -- End function
	.section	.AMDGPU.csdata,"",@progbits
; Kernel info:
; codeLenInByte = 1544
; NumSgprs: 26
; NumVgprs: 36
; ScratchSize: 0
; MemoryBound: 0
; FloatMode: 240
; IeeeMode: 1
; LDSByteSize: 448 bytes/workgroup (compile time only)
; SGPRBlocks: 3
; VGPRBlocks: 4
; NumSGPRsForWavesPerEU: 26
; NumVGPRsForWavesPerEU: 36
; Occupancy: 16
; WaveLimiterHint : 0
; COMPUTE_PGM_RSRC2:SCRATCH_EN: 0
; COMPUTE_PGM_RSRC2:USER_SGPR: 15
; COMPUTE_PGM_RSRC2:TRAP_HANDLER: 0
; COMPUTE_PGM_RSRC2:TGID_X_EN: 1
; COMPUTE_PGM_RSRC2:TGID_Y_EN: 0
; COMPUTE_PGM_RSRC2:TGID_Z_EN: 0
; COMPUTE_PGM_RSRC2:TIDIG_COMP_CNT: 0
	.section	.text._ZN9rocsparseL29bsrmmnt_small_blockdim_kernelILj64ELj64ELj2EiiaaiiEEv20rocsparse_direction_T3_S2_llNS_24const_host_device_scalarIT7_EEPKT2_PKS2_PKT4_PKT5_llS5_PT6_ll16rocsparse_order_21rocsparse_index_base_b,"axG",@progbits,_ZN9rocsparseL29bsrmmnt_small_blockdim_kernelILj64ELj64ELj2EiiaaiiEEv20rocsparse_direction_T3_S2_llNS_24const_host_device_scalarIT7_EEPKT2_PKS2_PKT4_PKT5_llS5_PT6_ll16rocsparse_order_21rocsparse_index_base_b,comdat
	.globl	_ZN9rocsparseL29bsrmmnt_small_blockdim_kernelILj64ELj64ELj2EiiaaiiEEv20rocsparse_direction_T3_S2_llNS_24const_host_device_scalarIT7_EEPKT2_PKS2_PKT4_PKT5_llS5_PT6_ll16rocsparse_order_21rocsparse_index_base_b ; -- Begin function _ZN9rocsparseL29bsrmmnt_small_blockdim_kernelILj64ELj64ELj2EiiaaiiEEv20rocsparse_direction_T3_S2_llNS_24const_host_device_scalarIT7_EEPKT2_PKS2_PKT4_PKT5_llS5_PT6_ll16rocsparse_order_21rocsparse_index_base_b
	.p2align	8
	.type	_ZN9rocsparseL29bsrmmnt_small_blockdim_kernelILj64ELj64ELj2EiiaaiiEEv20rocsparse_direction_T3_S2_llNS_24const_host_device_scalarIT7_EEPKT2_PKS2_PKT4_PKT5_llS5_PT6_ll16rocsparse_order_21rocsparse_index_base_b,@function
_ZN9rocsparseL29bsrmmnt_small_blockdim_kernelILj64ELj64ELj2EiiaaiiEEv20rocsparse_direction_T3_S2_llNS_24const_host_device_scalarIT7_EEPKT2_PKS2_PKT4_PKT5_llS5_PT6_ll16rocsparse_order_21rocsparse_index_base_b: ; @_ZN9rocsparseL29bsrmmnt_small_blockdim_kernelILj64ELj64ELj2EiiaaiiEEv20rocsparse_direction_T3_S2_llNS_24const_host_device_scalarIT7_EEPKT2_PKS2_PKT4_PKT5_llS5_PT6_ll16rocsparse_order_21rocsparse_index_base_b
; %bb.0:
	s_clause 0x1
	s_load_b128 s[16:19], s[0:1], 0x78
	s_load_b64 s[4:5], s[0:1], 0x20
	s_mov_b32 s7, -1
	s_waitcnt lgkmcnt(0)
	s_bitcmp1_b32 s18, 0
                                        ; implicit-def: $sgpr18
	s_cselect_b32 s2, -1, 0
	s_delay_alu instid0(SALU_CYCLE_1) | instskip(NEXT) | instid1(SALU_CYCLE_1)
	s_xor_b32 s6, s2, -1
	s_and_b32 vcc_lo, exec_lo, s6
	s_cbranch_vccnz .LBB84_4
; %bb.1:
	s_load_b64 s[2:3], s[0:1], 0x58
	s_and_not1_b32 vcc_lo, exec_lo, s7
	s_cbranch_vccz .LBB84_5
.LBB84_2:
	s_and_b32 vcc_lo, exec_lo, s6
	s_cbranch_vccz .LBB84_6
.LBB84_3:
	s_waitcnt lgkmcnt(0)
	s_load_b32 s19, s[2:3], 0x0
	s_cbranch_execz .LBB84_7
	s_branch .LBB84_8
.LBB84_4:
	s_load_b32 s18, s[4:5], 0x0
	s_load_b64 s[2:3], s[0:1], 0x58
	s_cbranch_execnz .LBB84_2
.LBB84_5:
	s_waitcnt lgkmcnt(0)
	s_mov_b32 s18, s4
	s_and_b32 vcc_lo, exec_lo, s6
	s_cbranch_vccnz .LBB84_3
.LBB84_6:
	s_waitcnt lgkmcnt(0)
                                        ; implicit-def: $sgpr19
.LBB84_7:
	s_waitcnt lgkmcnt(0)
	s_mov_b32 s19, s2
.LBB84_8:
	s_cmp_eq_u32 s18, 0
	s_cselect_b32 s2, -1, 0
	s_waitcnt lgkmcnt(0)
	s_cmp_eq_u32 s19, 1
	s_cselect_b32 s3, -1, 0
	s_delay_alu instid0(SALU_CYCLE_1) | instskip(NEXT) | instid1(SALU_CYCLE_1)
	s_and_b32 s2, s2, s3
	s_and_b32 vcc_lo, exec_lo, s2
	s_cbranch_vccnz .LBB84_34
; %bb.9:
	s_clause 0x1
	s_load_b32 s2, s[0:1], 0x94
	s_load_b128 s[20:23], s[0:1], 0x0
	s_waitcnt lgkmcnt(0)
	s_and_b32 s2, s2, 0xffff
	s_delay_alu instid0(SALU_CYCLE_1) | instskip(SKIP_1) | instid1(VALU_DEP_1)
	v_mad_u64_u32 v[1:2], null, s15, s2, v[0:1]
	s_mov_b32 s2, exec_lo
	v_lshrrev_b32_e32 v2, 7, v1
	s_delay_alu instid0(VALU_DEP_1)
	v_cmpx_gt_i32_e64 s21, v2
	s_cbranch_execz .LBB84_34
; %bb.10:
	s_cmp_lt_i32 s22, 1
	s_cbranch_scc1 .LBB84_34
; %bb.11:
	s_clause 0x1
	s_load_b128 s[12:15], s[0:1], 0x60
	s_load_b64 s[2:3], s[0:1], 0x48
	v_lshrrev_b32_e32 v9, 6, v1
	s_load_b256 s[4:11], s[0:1], 0x28
	s_cmp_lg_u32 s19, 0
	v_bfe_u32 v1, v1, 6, 1
	v_mul_u32_u24_e32 v8, 3, v0
	s_delay_alu instid0(VALU_DEP_1) | instskip(SKIP_2) | instid1(VALU_DEP_1)
	v_or_b32_e32 v8, 0x100, v8
	s_waitcnt lgkmcnt(0)
	v_mad_u64_u32 v[4:5], null, v9, s14, 0
	v_mad_u64_u32 v[6:7], null, v9, s15, v[5:6]
	v_lshlrev_b32_e32 v2, 2, v2
	v_lshlrev_b32_e32 v7, 2, v0
	s_delay_alu instid0(VALU_DEP_3)
	v_mov_b32_e32 v5, v6
	global_load_b64 v[2:3], v2, s[4:5]
	s_cselect_b32 s4, -1, 0
	s_cmp_lg_u32 s16, 1
	v_lshlrev_b32_e32 v6, 2, v9
	s_cselect_b32 s5, -1, 0
	s_cmp_eq_u32 s20, 0
	v_lshlrev_b64 v[4:5], 2, v[4:5]
	s_cselect_b32 s1, -1, 0
	v_add_co_u32 v9, s0, s12, v6
	v_cndmask_b32_e64 v15, 0, 1, s1
	v_add_co_ci_u32_e64 v10, null, s13, 0, s0
	s_delay_alu instid0(VALU_DEP_4) | instskip(SKIP_1) | instid1(VALU_DEP_4)
	v_add_co_u32 v11, vcc_lo, s12, v4
	v_add_co_ci_u32_e32 v12, vcc_lo, s13, v5, vcc_lo
	v_lshlrev_b32_e32 v15, v15, v1
	s_and_b32 s1, s1, exec_lo
	s_mov_b32 s12, 0
	s_cselect_b32 s13, 1, 2
	s_waitcnt vmcnt(0)
	v_subrev_nc_u32_e32 v13, s17, v2
	v_subrev_nc_u32_e32 v14, s17, v3
	v_cmp_lt_i32_e64 s0, v2, v3
	s_branch .LBB84_13
.LBB84_12:                              ;   in Loop: Header=BB84_13 Depth=1
	s_or_b32 exec_lo, exec_lo, s1
	s_add_i32 s12, s12, 64
	s_delay_alu instid0(SALU_CYCLE_1)
	s_cmp_lt_i32 s12, s22
	s_cbranch_scc0 .LBB84_34
.LBB84_13:                              ; =>This Loop Header: Depth=1
                                        ;     Child Loop BB84_16 Depth 2
                                        ;       Child Loop BB84_20 Depth 3
	v_or_b32_e32 v1, s12, v0
	v_mov_b32_e32 v16, 0
	s_delay_alu instid0(VALU_DEP_2)
	v_ashrrev_i32_e32 v2, 31, v1
	s_and_saveexec_b32 s16, s0
	s_cbranch_execz .LBB84_22
; %bb.14:                               ;   in Loop: Header=BB84_13 Depth=1
	v_add_co_u32 v3, s1, s10, v1
	v_cmp_gt_i32_e32 vcc_lo, s22, v1
	v_add_co_ci_u32_e64 v4, s1, s11, v2, s1
	v_dual_mov_b32 v16, 0 :: v_dual_mov_b32 v17, v13
	s_mov_b32 s20, 0
	s_branch .LBB84_16
.LBB84_15:                              ;   in Loop: Header=BB84_16 Depth=2
	s_or_b32 exec_lo, exec_lo, s1
	v_add_nc_u32_e32 v17, 64, v17
	s_delay_alu instid0(VALU_DEP_1) | instskip(NEXT) | instid1(VALU_DEP_1)
	v_cmp_ge_i32_e64 s1, v17, v14
	s_or_b32 s20, s1, s20
	s_delay_alu instid0(SALU_CYCLE_1)
	s_and_not1_b32 exec_lo, exec_lo, s20
	s_cbranch_execz .LBB84_21
.LBB84_16:                              ;   Parent Loop BB84_13 Depth=1
                                        ; =>  This Loop Header: Depth=2
                                        ;       Child Loop BB84_20 Depth 3
	s_delay_alu instid0(VALU_DEP_1) | instskip(SKIP_2) | instid1(VALU_DEP_2)
	v_dual_mov_b32 v6, 0 :: v_dual_add_nc_u32 v5, v17, v0
	v_dual_mov_b32 v19, 0 :: v_dual_mov_b32 v18, 0
	s_mov_b32 s21, exec_lo
	v_cmpx_lt_i32_e64 v5, v14
	s_cbranch_execz .LBB84_18
; %bb.17:                               ;   in Loop: Header=BB84_16 Depth=2
	v_ashrrev_i32_e32 v6, 31, v5
	s_delay_alu instid0(VALU_DEP_1) | instskip(SKIP_1) | instid1(VALU_DEP_2)
	v_lshlrev_b64 v[18:19], 2, v[5:6]
	v_lshl_or_b32 v5, v5, 2, v15
	v_add_co_u32 v18, s1, s6, v18
	s_delay_alu instid0(VALU_DEP_1)
	v_add_co_ci_u32_e64 v19, s1, s7, v19, s1
	global_load_b32 v19, v[18:19], off
	v_or_b32_e32 v18, s13, v5
	s_clause 0x1
	global_load_u8 v6, v5, s[8:9]
	global_load_u8 v18, v18, s[8:9]
	s_waitcnt vmcnt(2)
	v_subrev_nc_u32_e32 v5, s17, v19
	s_delay_alu instid0(VALU_DEP_1)
	v_lshlrev_b32_e32 v19, 1, v5
.LBB84_18:                              ;   in Loop: Header=BB84_16 Depth=2
	s_or_b32 exec_lo, exec_lo, s21
	ds_store_b32 v7, v19
	s_waitcnt vmcnt(1)
	ds_store_b8 v8, v6
	s_waitcnt vmcnt(0)
	ds_store_b8 v8, v18 offset:1
	s_waitcnt lgkmcnt(0)
	s_waitcnt_vscnt null, 0x0
	s_barrier
	buffer_gl0_inv
	s_and_saveexec_b32 s1, vcc_lo
	s_cbranch_execz .LBB84_15
; %bb.19:                               ;   in Loop: Header=BB84_16 Depth=2
	v_mov_b32_e32 v5, 0x100
	s_mov_b32 s21, 0
.LBB84_20:                              ;   Parent Loop BB84_13 Depth=1
                                        ;     Parent Loop BB84_16 Depth=2
                                        ; =>    This Inner Loop Header: Depth=3
	s_delay_alu instid0(SALU_CYCLE_1)
	v_mov_b32_e32 v6, s21
	s_add_i32 s21, s21, 8
	ds_load_b64 v[18:19], v6
	s_waitcnt lgkmcnt(0)
	v_readfirstlane_b32 s23, v18
	v_readfirstlane_b32 s24, v19
	s_delay_alu instid0(VALU_DEP_2)
	s_ashr_i32 s25, s23, 31
	v_mad_u64_u32 v[18:19], null, s23, s2, v[3:4]
	s_mul_i32 s26, s23, s3
	s_add_i32 s23, s23, 1
	s_ashr_i32 s27, s24, 31
	v_mad_u64_u32 v[20:21], null, s24, s2, v[3:4]
	s_mul_i32 s28, s24, s3
	s_add_i32 s24, s24, 1
	v_mad_u64_u32 v[22:23], null, s23, s2, v[3:4]
	v_mad_u64_u32 v[24:25], null, s24, s2, v[3:4]
	s_ashr_i32 s29, s23, 31
	s_mul_i32 s25, s25, s2
	s_mul_i32 s30, s23, s3
	s_ashr_i32 s23, s24, 31
	s_mul_i32 s29, s29, s2
	s_mul_i32 s27, s27, s2
	v_add3_u32 v19, s26, s25, v19
	s_mul_i32 s24, s24, s3
	s_mul_i32 s23, s23, s2
	v_add3_u32 v23, s30, s29, v23
	v_add3_u32 v21, s28, s27, v21
	;; [unrolled: 1-line block ×3, first 2 shown]
	s_clause 0x3
	global_load_i8 v6, v[18:19], off
	global_load_i8 v18, v[22:23], off
	global_load_i8 v19, v[20:21], off
	global_load_i8 v20, v[24:25], off
	ds_load_u16 v21, v5
	ds_load_i8 v22, v5 offset:3
	ds_load_i8 v23, v5 offset:4
	v_add_nc_u32_e32 v5, 6, v5
	s_cmpk_lg_i32 s21, 0x100
	s_waitcnt lgkmcnt(2)
	v_perm_b32 v21, v21, v21, 0xc0c0100
	s_waitcnt lgkmcnt(0)
	v_perm_b32 v22, v23, v22, 0x4000c0c
	s_waitcnt vmcnt(2)
	v_perm_b32 v6, v18, v6, 0xc0c0400
	s_waitcnt vmcnt(0)
	v_perm_b32 v18, v20, v19, 0x4000c0c
	v_or_b32_e32 v19, v22, v21
	s_delay_alu instid0(VALU_DEP_2) | instskip(NEXT) | instid1(VALU_DEP_1)
	v_or_b32_e32 v6, v18, v6
	v_dot4_i32_iu8 v16, v19, v6, v16 neg_lo:[1,1,0]
	s_cbranch_scc1 .LBB84_20
	s_branch .LBB84_15
.LBB84_21:                              ;   in Loop: Header=BB84_13 Depth=1
	s_or_b32 exec_lo, exec_lo, s20
.LBB84_22:                              ;   in Loop: Header=BB84_13 Depth=1
	s_delay_alu instid0(SALU_CYCLE_1) | instskip(NEXT) | instid1(SALU_CYCLE_1)
	s_or_b32 exec_lo, exec_lo, s16
	s_mov_b32 s1, exec_lo
	v_cmpx_gt_i32_e64 s22, v1
	s_cbranch_execz .LBB84_12
; %bb.23:                               ;   in Loop: Header=BB84_13 Depth=1
	s_and_b32 vcc_lo, exec_lo, s4
	s_cbranch_vccz .LBB84_29
; %bb.24:                               ;   in Loop: Header=BB84_13 Depth=1
	s_and_b32 vcc_lo, exec_lo, s5
	s_mov_b32 s16, -1
	s_cbranch_vccz .LBB84_26
; %bb.25:                               ;   in Loop: Header=BB84_13 Depth=1
	v_lshlrev_b64 v[3:4], 2, v[1:2]
	v_mul_lo_u32 v5, v16, s18
	s_mov_b32 s16, 0
	s_delay_alu instid0(VALU_DEP_2) | instskip(NEXT) | instid1(VALU_DEP_3)
	v_add_co_u32 v3, vcc_lo, v11, v3
	v_add_co_ci_u32_e32 v4, vcc_lo, v12, v4, vcc_lo
	global_load_b32 v6, v[3:4], off
	s_waitcnt vmcnt(0)
	v_mad_u64_u32 v[17:18], null, v6, s19, v[5:6]
	global_store_b32 v[3:4], v17, off
.LBB84_26:                              ;   in Loop: Header=BB84_13 Depth=1
	s_and_not1_b32 vcc_lo, exec_lo, s16
	s_cbranch_vccnz .LBB84_28
; %bb.27:                               ;   in Loop: Header=BB84_13 Depth=1
	v_mul_lo_u32 v5, v2, s14
	v_mul_lo_u32 v6, v1, s15
	v_mad_u64_u32 v[3:4], null, v1, s14, 0
	s_delay_alu instid0(VALU_DEP_1) | instskip(SKIP_1) | instid1(VALU_DEP_2)
	v_add3_u32 v4, v4, v6, v5
	v_mul_lo_u32 v5, v16, s18
	v_lshlrev_b64 v[3:4], 2, v[3:4]
	s_delay_alu instid0(VALU_DEP_1) | instskip(NEXT) | instid1(VALU_DEP_2)
	v_add_co_u32 v3, vcc_lo, v9, v3
	v_add_co_ci_u32_e32 v4, vcc_lo, v10, v4, vcc_lo
	global_load_b32 v6, v[3:4], off
	s_waitcnt vmcnt(0)
	v_mad_u64_u32 v[17:18], null, v6, s19, v[5:6]
	global_store_b32 v[3:4], v17, off
.LBB84_28:                              ;   in Loop: Header=BB84_13 Depth=1
	s_cbranch_execnz .LBB84_12
	s_branch .LBB84_30
.LBB84_29:                              ;   in Loop: Header=BB84_13 Depth=1
.LBB84_30:                              ;   in Loop: Header=BB84_13 Depth=1
	v_mul_lo_u32 v3, v16, s18
	s_and_b32 vcc_lo, exec_lo, s5
	s_mov_b32 s16, -1
	s_cbranch_vccz .LBB84_32
; %bb.31:                               ;   in Loop: Header=BB84_13 Depth=1
	v_lshlrev_b64 v[4:5], 2, v[1:2]
	s_mov_b32 s16, 0
	s_delay_alu instid0(VALU_DEP_1) | instskip(NEXT) | instid1(VALU_DEP_2)
	v_add_co_u32 v4, vcc_lo, v11, v4
	v_add_co_ci_u32_e32 v5, vcc_lo, v12, v5, vcc_lo
	global_store_b32 v[4:5], v3, off
.LBB84_32:                              ;   in Loop: Header=BB84_13 Depth=1
	s_and_not1_b32 vcc_lo, exec_lo, s16
	s_cbranch_vccnz .LBB84_12
; %bb.33:                               ;   in Loop: Header=BB84_13 Depth=1
	v_mul_lo_u32 v2, v2, s14
	v_mul_lo_u32 v6, v1, s15
	v_mad_u64_u32 v[4:5], null, v1, s14, 0
	s_delay_alu instid0(VALU_DEP_1) | instskip(NEXT) | instid1(VALU_DEP_1)
	v_add3_u32 v5, v5, v6, v2
	v_lshlrev_b64 v[1:2], 2, v[4:5]
	s_delay_alu instid0(VALU_DEP_1) | instskip(NEXT) | instid1(VALU_DEP_2)
	v_add_co_u32 v1, vcc_lo, v9, v1
	v_add_co_ci_u32_e32 v2, vcc_lo, v10, v2, vcc_lo
	global_store_b32 v[1:2], v3, off
	s_branch .LBB84_12
.LBB84_34:
	s_nop 0
	s_sendmsg sendmsg(MSG_DEALLOC_VGPRS)
	s_endpgm
	.section	.rodata,"a",@progbits
	.p2align	6, 0x0
	.amdhsa_kernel _ZN9rocsparseL29bsrmmnt_small_blockdim_kernelILj64ELj64ELj2EiiaaiiEEv20rocsparse_direction_T3_S2_llNS_24const_host_device_scalarIT7_EEPKT2_PKS2_PKT4_PKT5_llS5_PT6_ll16rocsparse_order_21rocsparse_index_base_b
		.amdhsa_group_segment_fixed_size 448
		.amdhsa_private_segment_fixed_size 0
		.amdhsa_kernarg_size 392
		.amdhsa_user_sgpr_count 15
		.amdhsa_user_sgpr_dispatch_ptr 0
		.amdhsa_user_sgpr_queue_ptr 0
		.amdhsa_user_sgpr_kernarg_segment_ptr 1
		.amdhsa_user_sgpr_dispatch_id 0
		.amdhsa_user_sgpr_private_segment_size 0
		.amdhsa_wavefront_size32 1
		.amdhsa_uses_dynamic_stack 0
		.amdhsa_enable_private_segment 0
		.amdhsa_system_sgpr_workgroup_id_x 1
		.amdhsa_system_sgpr_workgroup_id_y 0
		.amdhsa_system_sgpr_workgroup_id_z 0
		.amdhsa_system_sgpr_workgroup_info 0
		.amdhsa_system_vgpr_workitem_id 0
		.amdhsa_next_free_vgpr 26
		.amdhsa_next_free_sgpr 31
		.amdhsa_reserve_vcc 1
		.amdhsa_float_round_mode_32 0
		.amdhsa_float_round_mode_16_64 0
		.amdhsa_float_denorm_mode_32 3
		.amdhsa_float_denorm_mode_16_64 3
		.amdhsa_dx10_clamp 1
		.amdhsa_ieee_mode 1
		.amdhsa_fp16_overflow 0
		.amdhsa_workgroup_processor_mode 1
		.amdhsa_memory_ordered 1
		.amdhsa_forward_progress 0
		.amdhsa_shared_vgpr_count 0
		.amdhsa_exception_fp_ieee_invalid_op 0
		.amdhsa_exception_fp_denorm_src 0
		.amdhsa_exception_fp_ieee_div_zero 0
		.amdhsa_exception_fp_ieee_overflow 0
		.amdhsa_exception_fp_ieee_underflow 0
		.amdhsa_exception_fp_ieee_inexact 0
		.amdhsa_exception_int_div_zero 0
	.end_amdhsa_kernel
	.section	.text._ZN9rocsparseL29bsrmmnt_small_blockdim_kernelILj64ELj64ELj2EiiaaiiEEv20rocsparse_direction_T3_S2_llNS_24const_host_device_scalarIT7_EEPKT2_PKS2_PKT4_PKT5_llS5_PT6_ll16rocsparse_order_21rocsparse_index_base_b,"axG",@progbits,_ZN9rocsparseL29bsrmmnt_small_blockdim_kernelILj64ELj64ELj2EiiaaiiEEv20rocsparse_direction_T3_S2_llNS_24const_host_device_scalarIT7_EEPKT2_PKS2_PKT4_PKT5_llS5_PT6_ll16rocsparse_order_21rocsparse_index_base_b,comdat
.Lfunc_end84:
	.size	_ZN9rocsparseL29bsrmmnt_small_blockdim_kernelILj64ELj64ELj2EiiaaiiEEv20rocsparse_direction_T3_S2_llNS_24const_host_device_scalarIT7_EEPKT2_PKS2_PKT4_PKT5_llS5_PT6_ll16rocsparse_order_21rocsparse_index_base_b, .Lfunc_end84-_ZN9rocsparseL29bsrmmnt_small_blockdim_kernelILj64ELj64ELj2EiiaaiiEEv20rocsparse_direction_T3_S2_llNS_24const_host_device_scalarIT7_EEPKT2_PKS2_PKT4_PKT5_llS5_PT6_ll16rocsparse_order_21rocsparse_index_base_b
                                        ; -- End function
	.section	.AMDGPU.csdata,"",@progbits
; Kernel info:
; codeLenInByte = 1480
; NumSgprs: 33
; NumVgprs: 26
; ScratchSize: 0
; MemoryBound: 0
; FloatMode: 240
; IeeeMode: 1
; LDSByteSize: 448 bytes/workgroup (compile time only)
; SGPRBlocks: 4
; VGPRBlocks: 3
; NumSGPRsForWavesPerEU: 33
; NumVGPRsForWavesPerEU: 26
; Occupancy: 16
; WaveLimiterHint : 0
; COMPUTE_PGM_RSRC2:SCRATCH_EN: 0
; COMPUTE_PGM_RSRC2:USER_SGPR: 15
; COMPUTE_PGM_RSRC2:TRAP_HANDLER: 0
; COMPUTE_PGM_RSRC2:TGID_X_EN: 1
; COMPUTE_PGM_RSRC2:TGID_Y_EN: 0
; COMPUTE_PGM_RSRC2:TGID_Z_EN: 0
; COMPUTE_PGM_RSRC2:TIDIG_COMP_CNT: 0
	.section	.text._ZN9rocsparseL29bsrmmnt_small_blockdim_kernelILj64ELj8ELj2EliaaiiEEv20rocsparse_direction_T3_S2_llNS_24const_host_device_scalarIT7_EEPKT2_PKS2_PKT4_PKT5_llS5_PT6_ll16rocsparse_order_21rocsparse_index_base_b,"axG",@progbits,_ZN9rocsparseL29bsrmmnt_small_blockdim_kernelILj64ELj8ELj2EliaaiiEEv20rocsparse_direction_T3_S2_llNS_24const_host_device_scalarIT7_EEPKT2_PKS2_PKT4_PKT5_llS5_PT6_ll16rocsparse_order_21rocsparse_index_base_b,comdat
	.globl	_ZN9rocsparseL29bsrmmnt_small_blockdim_kernelILj64ELj8ELj2EliaaiiEEv20rocsparse_direction_T3_S2_llNS_24const_host_device_scalarIT7_EEPKT2_PKS2_PKT4_PKT5_llS5_PT6_ll16rocsparse_order_21rocsparse_index_base_b ; -- Begin function _ZN9rocsparseL29bsrmmnt_small_blockdim_kernelILj64ELj8ELj2EliaaiiEEv20rocsparse_direction_T3_S2_llNS_24const_host_device_scalarIT7_EEPKT2_PKS2_PKT4_PKT5_llS5_PT6_ll16rocsparse_order_21rocsparse_index_base_b
	.p2align	8
	.type	_ZN9rocsparseL29bsrmmnt_small_blockdim_kernelILj64ELj8ELj2EliaaiiEEv20rocsparse_direction_T3_S2_llNS_24const_host_device_scalarIT7_EEPKT2_PKS2_PKT4_PKT5_llS5_PT6_ll16rocsparse_order_21rocsparse_index_base_b,@function
_ZN9rocsparseL29bsrmmnt_small_blockdim_kernelILj64ELj8ELj2EliaaiiEEv20rocsparse_direction_T3_S2_llNS_24const_host_device_scalarIT7_EEPKT2_PKS2_PKT4_PKT5_llS5_PT6_ll16rocsparse_order_21rocsparse_index_base_b: ; @_ZN9rocsparseL29bsrmmnt_small_blockdim_kernelILj64ELj8ELj2EliaaiiEEv20rocsparse_direction_T3_S2_llNS_24const_host_device_scalarIT7_EEPKT2_PKS2_PKT4_PKT5_llS5_PT6_ll16rocsparse_order_21rocsparse_index_base_b
; %bb.0:
	s_clause 0x1
	s_load_b128 s[16:19], s[0:1], 0x78
	s_load_b64 s[4:5], s[0:1], 0x20
	s_mov_b32 s7, -1
	s_waitcnt lgkmcnt(0)
	s_bitcmp1_b32 s18, 0
                                        ; implicit-def: $sgpr18
	s_cselect_b32 s2, -1, 0
	s_delay_alu instid0(SALU_CYCLE_1) | instskip(NEXT) | instid1(SALU_CYCLE_1)
	s_xor_b32 s6, s2, -1
	s_and_b32 vcc_lo, exec_lo, s6
	s_cbranch_vccnz .LBB85_4
; %bb.1:
	s_load_b64 s[2:3], s[0:1], 0x58
	s_and_not1_b32 vcc_lo, exec_lo, s7
	s_cbranch_vccz .LBB85_5
.LBB85_2:
	s_and_b32 vcc_lo, exec_lo, s6
	s_cbranch_vccz .LBB85_6
.LBB85_3:
	s_waitcnt lgkmcnt(0)
	s_load_b32 s19, s[2:3], 0x0
	s_cbranch_execz .LBB85_7
	s_branch .LBB85_8
.LBB85_4:
	s_load_b32 s18, s[4:5], 0x0
	s_load_b64 s[2:3], s[0:1], 0x58
	s_cbranch_execnz .LBB85_2
.LBB85_5:
	s_waitcnt lgkmcnt(0)
	s_mov_b32 s18, s4
	s_and_b32 vcc_lo, exec_lo, s6
	s_cbranch_vccnz .LBB85_3
.LBB85_6:
	s_waitcnt lgkmcnt(0)
                                        ; implicit-def: $sgpr19
.LBB85_7:
	s_waitcnt lgkmcnt(0)
	s_mov_b32 s19, s2
.LBB85_8:
	s_cmp_eq_u32 s18, 0
	s_cselect_b32 s2, -1, 0
	s_waitcnt lgkmcnt(0)
	s_cmp_eq_u32 s19, 1
	s_cselect_b32 s3, -1, 0
	s_delay_alu instid0(SALU_CYCLE_1) | instskip(NEXT) | instid1(SALU_CYCLE_1)
	s_and_b32 s2, s2, s3
	s_and_b32 vcc_lo, exec_lo, s2
	s_cbranch_vccnz .LBB85_34
; %bb.9:
	s_clause 0x1
	s_load_b32 s2, s[0:1], 0x94
	s_load_b128 s[20:23], s[0:1], 0x0
	s_waitcnt lgkmcnt(0)
	s_and_b32 s2, s2, 0xffff
	s_delay_alu instid0(SALU_CYCLE_1) | instskip(SKIP_1) | instid1(VALU_DEP_1)
	v_mad_u64_u32 v[1:2], null, s15, s2, v[0:1]
	s_mov_b32 s2, exec_lo
	v_lshrrev_b32_e32 v2, 4, v1
	s_delay_alu instid0(VALU_DEP_1)
	v_cmpx_gt_i32_e64 s21, v2
	s_cbranch_execz .LBB85_34
; %bb.10:
	s_cmp_lt_i32 s22, 1
	s_cbranch_scc1 .LBB85_34
; %bb.11:
	s_load_b256 s[4:11], s[0:1], 0x28
	v_lshlrev_b32_e32 v2, 3, v2
	s_clause 0x1
	s_load_b128 s[12:15], s[0:1], 0x60
	s_load_b64 s[2:3], s[0:1], 0x48
	v_lshrrev_b32_e32 v10, 3, v1
	v_bfe_u32 v11, v1, 3, 1
	v_lshrrev_b32_e32 v1, 3, v0
	v_and_b32_e32 v12, 7, v0
	s_cmp_lg_u32 s19, 0
	s_delay_alu instid0(VALU_DEP_2) | instskip(SKIP_1) | instid1(VALU_DEP_2)
	v_mul_u32_u24_e32 v0, 24, v1
	v_lshlrev_b32_e32 v13, 5, v1
	v_or_b32_e32 v14, 0x100, v0
	s_delay_alu instid0(VALU_DEP_2)
	v_lshl_or_b32 v15, v12, 2, v13
	s_waitcnt lgkmcnt(0)
	global_load_b128 v[4:7], v2, s[4:5]
	s_cselect_b32 s4, -1, 0
	v_mad_u64_u32 v[2:3], null, v10, s14, 0
	s_cmp_lg_u32 s16, 1
	v_mad_u32_u24 v16, v12, 3, v14
	s_cselect_b32 s5, -1, 0
	s_cmp_eq_u32 s20, 0
	s_cselect_b32 s1, -1, 0
	s_waitcnt vmcnt(0)
	s_delay_alu instid0(VALU_DEP_2) | instskip(SKIP_3) | instid1(VALU_DEP_2)
	v_mad_u64_u32 v[8:9], null, v10, s15, v[3:4]
	v_cndmask_b32_e64 v9, 0, 1, s1
	v_cmp_lt_i64_e64 s0, v[4:5], v[6:7]
	s_and_b32 s1, s1, exec_lo
	v_lshlrev_b32_e32 v21, v9, v11
	s_delay_alu instid0(VALU_DEP_4) | instskip(NEXT) | instid1(VALU_DEP_1)
	v_dual_mov_b32 v3, v8 :: v_dual_lshlrev_b32 v8, 2, v10
	v_lshlrev_b64 v[0:1], 2, v[2:3]
	s_delay_alu instid0(VALU_DEP_1) | instskip(NEXT) | instid1(VALU_DEP_2)
	v_add_co_u32 v17, vcc_lo, s12, v0
	v_add_co_ci_u32_e32 v18, vcc_lo, s13, v1, vcc_lo
	v_sub_co_u32 v0, vcc_lo, v4, s17
	v_subrev_co_ci_u32_e32 v1, vcc_lo, 0, v5, vcc_lo
	v_sub_co_u32 v2, vcc_lo, v6, s17
	v_add_co_u32 v19, s12, s12, v8
	v_subrev_co_ci_u32_e32 v3, vcc_lo, 0, v7, vcc_lo
	v_add_co_ci_u32_e64 v20, null, s13, 0, s12
	s_mov_b32 s12, 0
	s_cselect_b32 s13, 1, 2
	s_branch .LBB85_13
.LBB85_12:                              ;   in Loop: Header=BB85_13 Depth=1
	s_or_b32 exec_lo, exec_lo, s1
	s_add_i32 s12, s12, 8
	s_delay_alu instid0(SALU_CYCLE_1)
	s_cmp_lt_i32 s12, s22
	s_cbranch_scc0 .LBB85_34
.LBB85_13:                              ; =>This Loop Header: Depth=1
                                        ;     Child Loop BB85_16 Depth 2
                                        ;       Child Loop BB85_20 Depth 3
	v_or_b32_e32 v4, s12, v12
	v_mov_b32_e32 v22, 0
	s_delay_alu instid0(VALU_DEP_2)
	v_ashrrev_i32_e32 v5, 31, v4
	s_and_saveexec_b32 s16, s0
	s_cbranch_execz .LBB85_22
; %bb.14:                               ;   in Loop: Header=BB85_13 Depth=1
	v_add_co_u32 v6, s1, s10, v4
	v_dual_mov_b32 v22, 0 :: v_dual_mov_b32 v9, v1
	v_cmp_gt_i32_e32 vcc_lo, s22, v4
	v_add_co_ci_u32_e64 v7, s1, s11, v5, s1
	v_mov_b32_e32 v8, v0
	s_mov_b32 s20, 0
	s_branch .LBB85_16
.LBB85_15:                              ;   in Loop: Header=BB85_16 Depth=2
	s_or_b32 exec_lo, exec_lo, s1
	v_add_co_u32 v8, s1, v8, 8
	s_delay_alu instid0(VALU_DEP_1) | instskip(NEXT) | instid1(VALU_DEP_1)
	v_add_co_ci_u32_e64 v9, s1, 0, v9, s1
	v_cmp_ge_i64_e64 s1, v[8:9], v[2:3]
	s_delay_alu instid0(VALU_DEP_1) | instskip(NEXT) | instid1(SALU_CYCLE_1)
	s_or_b32 s20, s1, s20
	s_and_not1_b32 exec_lo, exec_lo, s20
	s_cbranch_execz .LBB85_21
.LBB85_16:                              ;   Parent Loop BB85_13 Depth=1
                                        ; =>  This Loop Header: Depth=2
                                        ;       Child Loop BB85_20 Depth 3
	s_delay_alu instid0(VALU_DEP_1) | instskip(NEXT) | instid1(VALU_DEP_1)
	v_add_co_u32 v10, s1, v8, v12
	v_add_co_ci_u32_e64 v11, s1, 0, v9, s1
	v_dual_mov_b32 v25, 0 :: v_dual_mov_b32 v24, 0
	v_mov_b32_e32 v23, 0
	s_mov_b32 s21, exec_lo
	s_delay_alu instid0(VALU_DEP_3)
	v_cmpx_lt_i64_e64 v[10:11], v[2:3]
	s_cbranch_execz .LBB85_18
; %bb.17:                               ;   in Loop: Header=BB85_16 Depth=2
	v_lshlrev_b64 v[10:11], 2, v[10:11]
	s_delay_alu instid0(VALU_DEP_1) | instskip(NEXT) | instid1(VALU_DEP_1)
	v_add_co_u32 v23, s1, s6, v10
	v_add_co_ci_u32_e64 v24, s1, s7, v11, s1
	v_or_b32_e32 v10, v10, v21
	v_or_b32_e32 v11, 0, v11
	global_load_b32 v26, v[23:24], off
	v_or_b32_e32 v24, s13, v10
	v_or_b32_e32 v23, 0, v11
	v_add_co_u32 v10, s1, s8, v10
	s_delay_alu instid0(VALU_DEP_1) | instskip(NEXT) | instid1(VALU_DEP_4)
	v_add_co_ci_u32_e64 v11, s1, s9, v11, s1
	v_add_co_u32 v24, s1, s8, v24
	s_delay_alu instid0(VALU_DEP_1)
	v_add_co_ci_u32_e64 v25, s1, s9, v23, s1
	s_clause 0x1
	global_load_u8 v23, v[10:11], off
	global_load_u8 v24, v[24:25], off
	s_waitcnt vmcnt(2)
	v_subrev_nc_u32_e32 v10, s17, v26
	s_delay_alu instid0(VALU_DEP_1)
	v_lshlrev_b32_e32 v25, 1, v10
.LBB85_18:                              ;   in Loop: Header=BB85_16 Depth=2
	s_or_b32 exec_lo, exec_lo, s21
	ds_store_b32 v15, v25
	s_waitcnt vmcnt(1)
	ds_store_b8 v16, v23
	s_waitcnt vmcnt(0)
	ds_store_b8 v16, v24 offset:1
	s_waitcnt lgkmcnt(0)
	s_waitcnt_vscnt null, 0x0
	s_barrier
	buffer_gl0_inv
	s_and_saveexec_b32 s1, vcc_lo
	s_cbranch_execz .LBB85_15
; %bb.19:                               ;   in Loop: Header=BB85_16 Depth=2
	v_mov_b32_e32 v10, v14
	s_mov_b32 s21, 0
.LBB85_20:                              ;   Parent Loop BB85_13 Depth=1
                                        ;     Parent Loop BB85_16 Depth=2
                                        ; =>    This Inner Loop Header: Depth=3
	s_delay_alu instid0(SALU_CYCLE_1) | instskip(SKIP_1) | instid1(SALU_CYCLE_1)
	v_add_nc_u32_e32 v11, s21, v13
	s_add_i32 s21, s21, 8
	s_cmp_lg_u32 s21, 32
	ds_load_b64 v[23:24], v11
	s_waitcnt lgkmcnt(0)
	v_add_nc_u32_e32 v29, 1, v23
	v_add_nc_u32_e32 v33, 1, v24
	v_ashrrev_i32_e32 v11, 31, v23
	v_ashrrev_i32_e32 v30, 31, v24
	v_mul_lo_u32 v31, v23, s3
	v_ashrrev_i32_e32 v34, 31, v29
	v_ashrrev_i32_e32 v37, 31, v33
	v_mad_u64_u32 v[25:26], null, v23, s2, v[6:7]
	v_mul_lo_u32 v11, v11, s2
	v_mul_lo_u32 v32, v24, s3
	v_mad_u64_u32 v[27:28], null, v24, s2, v[6:7]
	v_mul_lo_u32 v35, v29, s3
	v_mad_u64_u32 v[23:24], null, v29, s2, v[6:7]
	v_mul_lo_u32 v36, v30, s2
	v_mul_lo_u32 v38, v33, s3
	v_mad_u64_u32 v[29:30], null, v33, s2, v[6:7]
	v_mul_lo_u32 v33, v34, s2
	v_mul_lo_u32 v34, v37, s2
	v_add3_u32 v26, v11, v26, v31
	v_add3_u32 v28, v36, v28, v32
	s_delay_alu instid0(VALU_DEP_4) | instskip(NEXT) | instid1(VALU_DEP_4)
	v_add3_u32 v24, v33, v24, v35
	v_add3_u32 v30, v34, v30, v38
	s_clause 0x3
	global_load_i8 v11, v[25:26], off
	global_load_i8 v23, v[23:24], off
	global_load_i8 v24, v[27:28], off
	global_load_i8 v25, v[29:30], off
	ds_load_u16 v26, v10
	ds_load_i8 v27, v10 offset:3
	ds_load_i8 v28, v10 offset:4
	v_add_nc_u32_e32 v10, 6, v10
	s_waitcnt lgkmcnt(2)
	v_perm_b32 v26, v26, v26, 0xc0c0100
	s_waitcnt lgkmcnt(0)
	v_perm_b32 v27, v28, v27, 0x4000c0c
	s_waitcnt vmcnt(2)
	v_perm_b32 v11, v23, v11, 0xc0c0400
	s_waitcnt vmcnt(0)
	v_perm_b32 v23, v25, v24, 0x4000c0c
	v_or_b32_e32 v24, v27, v26
	s_delay_alu instid0(VALU_DEP_2) | instskip(NEXT) | instid1(VALU_DEP_1)
	v_or_b32_e32 v11, v23, v11
	v_dot4_i32_iu8 v22, v24, v11, v22 neg_lo:[1,1,0]
	s_cbranch_scc1 .LBB85_20
	s_branch .LBB85_15
.LBB85_21:                              ;   in Loop: Header=BB85_13 Depth=1
	s_or_b32 exec_lo, exec_lo, s20
.LBB85_22:                              ;   in Loop: Header=BB85_13 Depth=1
	s_delay_alu instid0(SALU_CYCLE_1) | instskip(NEXT) | instid1(SALU_CYCLE_1)
	s_or_b32 exec_lo, exec_lo, s16
	s_mov_b32 s1, exec_lo
	v_cmpx_gt_i32_e64 s22, v4
	s_cbranch_execz .LBB85_12
; %bb.23:                               ;   in Loop: Header=BB85_13 Depth=1
	s_and_b32 vcc_lo, exec_lo, s4
	s_cbranch_vccz .LBB85_29
; %bb.24:                               ;   in Loop: Header=BB85_13 Depth=1
	s_and_b32 vcc_lo, exec_lo, s5
	s_mov_b32 s16, -1
	s_cbranch_vccz .LBB85_26
; %bb.25:                               ;   in Loop: Header=BB85_13 Depth=1
	v_lshlrev_b64 v[6:7], 2, v[4:5]
	v_mul_lo_u32 v8, v22, s18
	s_mov_b32 s16, 0
	s_delay_alu instid0(VALU_DEP_2) | instskip(NEXT) | instid1(VALU_DEP_3)
	v_add_co_u32 v6, vcc_lo, v17, v6
	v_add_co_ci_u32_e32 v7, vcc_lo, v18, v7, vcc_lo
	global_load_b32 v11, v[6:7], off
	s_waitcnt vmcnt(0)
	v_mad_u64_u32 v[9:10], null, v11, s19, v[8:9]
	global_store_b32 v[6:7], v9, off
.LBB85_26:                              ;   in Loop: Header=BB85_13 Depth=1
	s_and_not1_b32 vcc_lo, exec_lo, s16
	s_cbranch_vccnz .LBB85_28
; %bb.27:                               ;   in Loop: Header=BB85_13 Depth=1
	v_mul_lo_u32 v8, v5, s14
	v_mul_lo_u32 v9, v4, s15
	v_mad_u64_u32 v[6:7], null, v4, s14, 0
	s_delay_alu instid0(VALU_DEP_1) | instskip(SKIP_1) | instid1(VALU_DEP_2)
	v_add3_u32 v7, v7, v9, v8
	v_mul_lo_u32 v8, v22, s18
	v_lshlrev_b64 v[6:7], 2, v[6:7]
	s_delay_alu instid0(VALU_DEP_1) | instskip(NEXT) | instid1(VALU_DEP_2)
	v_add_co_u32 v6, vcc_lo, v19, v6
	v_add_co_ci_u32_e32 v7, vcc_lo, v20, v7, vcc_lo
	global_load_b32 v11, v[6:7], off
	s_waitcnt vmcnt(0)
	v_mad_u64_u32 v[9:10], null, v11, s19, v[8:9]
	global_store_b32 v[6:7], v9, off
.LBB85_28:                              ;   in Loop: Header=BB85_13 Depth=1
	s_cbranch_execnz .LBB85_12
	s_branch .LBB85_30
.LBB85_29:                              ;   in Loop: Header=BB85_13 Depth=1
.LBB85_30:                              ;   in Loop: Header=BB85_13 Depth=1
	v_mul_lo_u32 v6, v22, s18
	s_and_b32 vcc_lo, exec_lo, s5
	s_mov_b32 s16, -1
	s_cbranch_vccz .LBB85_32
; %bb.31:                               ;   in Loop: Header=BB85_13 Depth=1
	v_lshlrev_b64 v[7:8], 2, v[4:5]
	s_mov_b32 s16, 0
	s_delay_alu instid0(VALU_DEP_1) | instskip(NEXT) | instid1(VALU_DEP_2)
	v_add_co_u32 v7, vcc_lo, v17, v7
	v_add_co_ci_u32_e32 v8, vcc_lo, v18, v8, vcc_lo
	global_store_b32 v[7:8], v6, off
.LBB85_32:                              ;   in Loop: Header=BB85_13 Depth=1
	s_and_not1_b32 vcc_lo, exec_lo, s16
	s_cbranch_vccnz .LBB85_12
; %bb.33:                               ;   in Loop: Header=BB85_13 Depth=1
	v_mul_lo_u32 v5, v5, s14
	v_mul_lo_u32 v9, v4, s15
	v_mad_u64_u32 v[7:8], null, v4, s14, 0
	s_delay_alu instid0(VALU_DEP_1) | instskip(NEXT) | instid1(VALU_DEP_1)
	v_add3_u32 v8, v8, v9, v5
	v_lshlrev_b64 v[4:5], 2, v[7:8]
	s_delay_alu instid0(VALU_DEP_1) | instskip(NEXT) | instid1(VALU_DEP_2)
	v_add_co_u32 v4, vcc_lo, v19, v4
	v_add_co_ci_u32_e32 v5, vcc_lo, v20, v5, vcc_lo
	global_store_b32 v[4:5], v6, off
	s_branch .LBB85_12
.LBB85_34:
	s_nop 0
	s_sendmsg sendmsg(MSG_DEALLOC_VGPRS)
	s_endpgm
	.section	.rodata,"a",@progbits
	.p2align	6, 0x0
	.amdhsa_kernel _ZN9rocsparseL29bsrmmnt_small_blockdim_kernelILj64ELj8ELj2EliaaiiEEv20rocsparse_direction_T3_S2_llNS_24const_host_device_scalarIT7_EEPKT2_PKS2_PKT4_PKT5_llS5_PT6_ll16rocsparse_order_21rocsparse_index_base_b
		.amdhsa_group_segment_fixed_size 448
		.amdhsa_private_segment_fixed_size 0
		.amdhsa_kernarg_size 392
		.amdhsa_user_sgpr_count 15
		.amdhsa_user_sgpr_dispatch_ptr 0
		.amdhsa_user_sgpr_queue_ptr 0
		.amdhsa_user_sgpr_kernarg_segment_ptr 1
		.amdhsa_user_sgpr_dispatch_id 0
		.amdhsa_user_sgpr_private_segment_size 0
		.amdhsa_wavefront_size32 1
		.amdhsa_uses_dynamic_stack 0
		.amdhsa_enable_private_segment 0
		.amdhsa_system_sgpr_workgroup_id_x 1
		.amdhsa_system_sgpr_workgroup_id_y 0
		.amdhsa_system_sgpr_workgroup_id_z 0
		.amdhsa_system_sgpr_workgroup_info 0
		.amdhsa_system_vgpr_workitem_id 0
		.amdhsa_next_free_vgpr 39
		.amdhsa_next_free_sgpr 24
		.amdhsa_reserve_vcc 1
		.amdhsa_float_round_mode_32 0
		.amdhsa_float_round_mode_16_64 0
		.amdhsa_float_denorm_mode_32 3
		.amdhsa_float_denorm_mode_16_64 3
		.amdhsa_dx10_clamp 1
		.amdhsa_ieee_mode 1
		.amdhsa_fp16_overflow 0
		.amdhsa_workgroup_processor_mode 1
		.amdhsa_memory_ordered 1
		.amdhsa_forward_progress 0
		.amdhsa_shared_vgpr_count 0
		.amdhsa_exception_fp_ieee_invalid_op 0
		.amdhsa_exception_fp_denorm_src 0
		.amdhsa_exception_fp_ieee_div_zero 0
		.amdhsa_exception_fp_ieee_overflow 0
		.amdhsa_exception_fp_ieee_underflow 0
		.amdhsa_exception_fp_ieee_inexact 0
		.amdhsa_exception_int_div_zero 0
	.end_amdhsa_kernel
	.section	.text._ZN9rocsparseL29bsrmmnt_small_blockdim_kernelILj64ELj8ELj2EliaaiiEEv20rocsparse_direction_T3_S2_llNS_24const_host_device_scalarIT7_EEPKT2_PKS2_PKT4_PKT5_llS5_PT6_ll16rocsparse_order_21rocsparse_index_base_b,"axG",@progbits,_ZN9rocsparseL29bsrmmnt_small_blockdim_kernelILj64ELj8ELj2EliaaiiEEv20rocsparse_direction_T3_S2_llNS_24const_host_device_scalarIT7_EEPKT2_PKS2_PKT4_PKT5_llS5_PT6_ll16rocsparse_order_21rocsparse_index_base_b,comdat
.Lfunc_end85:
	.size	_ZN9rocsparseL29bsrmmnt_small_blockdim_kernelILj64ELj8ELj2EliaaiiEEv20rocsparse_direction_T3_S2_llNS_24const_host_device_scalarIT7_EEPKT2_PKS2_PKT4_PKT5_llS5_PT6_ll16rocsparse_order_21rocsparse_index_base_b, .Lfunc_end85-_ZN9rocsparseL29bsrmmnt_small_blockdim_kernelILj64ELj8ELj2EliaaiiEEv20rocsparse_direction_T3_S2_llNS_24const_host_device_scalarIT7_EEPKT2_PKS2_PKT4_PKT5_llS5_PT6_ll16rocsparse_order_21rocsparse_index_base_b
                                        ; -- End function
	.section	.AMDGPU.csdata,"",@progbits
; Kernel info:
; codeLenInByte = 1616
; NumSgprs: 26
; NumVgprs: 39
; ScratchSize: 0
; MemoryBound: 0
; FloatMode: 240
; IeeeMode: 1
; LDSByteSize: 448 bytes/workgroup (compile time only)
; SGPRBlocks: 3
; VGPRBlocks: 4
; NumSGPRsForWavesPerEU: 26
; NumVGPRsForWavesPerEU: 39
; Occupancy: 16
; WaveLimiterHint : 0
; COMPUTE_PGM_RSRC2:SCRATCH_EN: 0
; COMPUTE_PGM_RSRC2:USER_SGPR: 15
; COMPUTE_PGM_RSRC2:TRAP_HANDLER: 0
; COMPUTE_PGM_RSRC2:TGID_X_EN: 1
; COMPUTE_PGM_RSRC2:TGID_Y_EN: 0
; COMPUTE_PGM_RSRC2:TGID_Z_EN: 0
; COMPUTE_PGM_RSRC2:TIDIG_COMP_CNT: 0
	.section	.text._ZN9rocsparseL29bsrmmnt_small_blockdim_kernelILj64ELj16ELj2EliaaiiEEv20rocsparse_direction_T3_S2_llNS_24const_host_device_scalarIT7_EEPKT2_PKS2_PKT4_PKT5_llS5_PT6_ll16rocsparse_order_21rocsparse_index_base_b,"axG",@progbits,_ZN9rocsparseL29bsrmmnt_small_blockdim_kernelILj64ELj16ELj2EliaaiiEEv20rocsparse_direction_T3_S2_llNS_24const_host_device_scalarIT7_EEPKT2_PKS2_PKT4_PKT5_llS5_PT6_ll16rocsparse_order_21rocsparse_index_base_b,comdat
	.globl	_ZN9rocsparseL29bsrmmnt_small_blockdim_kernelILj64ELj16ELj2EliaaiiEEv20rocsparse_direction_T3_S2_llNS_24const_host_device_scalarIT7_EEPKT2_PKS2_PKT4_PKT5_llS5_PT6_ll16rocsparse_order_21rocsparse_index_base_b ; -- Begin function _ZN9rocsparseL29bsrmmnt_small_blockdim_kernelILj64ELj16ELj2EliaaiiEEv20rocsparse_direction_T3_S2_llNS_24const_host_device_scalarIT7_EEPKT2_PKS2_PKT4_PKT5_llS5_PT6_ll16rocsparse_order_21rocsparse_index_base_b
	.p2align	8
	.type	_ZN9rocsparseL29bsrmmnt_small_blockdim_kernelILj64ELj16ELj2EliaaiiEEv20rocsparse_direction_T3_S2_llNS_24const_host_device_scalarIT7_EEPKT2_PKS2_PKT4_PKT5_llS5_PT6_ll16rocsparse_order_21rocsparse_index_base_b,@function
_ZN9rocsparseL29bsrmmnt_small_blockdim_kernelILj64ELj16ELj2EliaaiiEEv20rocsparse_direction_T3_S2_llNS_24const_host_device_scalarIT7_EEPKT2_PKS2_PKT4_PKT5_llS5_PT6_ll16rocsparse_order_21rocsparse_index_base_b: ; @_ZN9rocsparseL29bsrmmnt_small_blockdim_kernelILj64ELj16ELj2EliaaiiEEv20rocsparse_direction_T3_S2_llNS_24const_host_device_scalarIT7_EEPKT2_PKS2_PKT4_PKT5_llS5_PT6_ll16rocsparse_order_21rocsparse_index_base_b
; %bb.0:
	s_clause 0x1
	s_load_b128 s[16:19], s[0:1], 0x78
	s_load_b64 s[4:5], s[0:1], 0x20
	s_mov_b32 s7, -1
	s_waitcnt lgkmcnt(0)
	s_bitcmp1_b32 s18, 0
                                        ; implicit-def: $sgpr18
	s_cselect_b32 s2, -1, 0
	s_delay_alu instid0(SALU_CYCLE_1) | instskip(NEXT) | instid1(SALU_CYCLE_1)
	s_xor_b32 s6, s2, -1
	s_and_b32 vcc_lo, exec_lo, s6
	s_cbranch_vccnz .LBB86_4
; %bb.1:
	s_load_b64 s[2:3], s[0:1], 0x58
	s_and_not1_b32 vcc_lo, exec_lo, s7
	s_cbranch_vccz .LBB86_5
.LBB86_2:
	s_and_b32 vcc_lo, exec_lo, s6
	s_cbranch_vccz .LBB86_6
.LBB86_3:
	s_waitcnt lgkmcnt(0)
	s_load_b32 s19, s[2:3], 0x0
	s_cbranch_execz .LBB86_7
	s_branch .LBB86_8
.LBB86_4:
	s_load_b32 s18, s[4:5], 0x0
	s_load_b64 s[2:3], s[0:1], 0x58
	s_cbranch_execnz .LBB86_2
.LBB86_5:
	s_waitcnt lgkmcnt(0)
	s_mov_b32 s18, s4
	s_and_b32 vcc_lo, exec_lo, s6
	s_cbranch_vccnz .LBB86_3
.LBB86_6:
	s_waitcnt lgkmcnt(0)
                                        ; implicit-def: $sgpr19
.LBB86_7:
	s_waitcnt lgkmcnt(0)
	s_mov_b32 s19, s2
.LBB86_8:
	s_cmp_eq_u32 s18, 0
	s_cselect_b32 s2, -1, 0
	s_waitcnt lgkmcnt(0)
	s_cmp_eq_u32 s19, 1
	s_cselect_b32 s3, -1, 0
	s_delay_alu instid0(SALU_CYCLE_1) | instskip(NEXT) | instid1(SALU_CYCLE_1)
	s_and_b32 s2, s2, s3
	s_and_b32 vcc_lo, exec_lo, s2
	s_cbranch_vccnz .LBB86_34
; %bb.9:
	s_clause 0x1
	s_load_b32 s2, s[0:1], 0x94
	s_load_b128 s[20:23], s[0:1], 0x0
	s_waitcnt lgkmcnt(0)
	s_and_b32 s2, s2, 0xffff
	s_delay_alu instid0(SALU_CYCLE_1) | instskip(SKIP_1) | instid1(VALU_DEP_1)
	v_mad_u64_u32 v[1:2], null, s15, s2, v[0:1]
	s_mov_b32 s2, exec_lo
	v_lshrrev_b32_e32 v2, 5, v1
	s_delay_alu instid0(VALU_DEP_1)
	v_cmpx_gt_i32_e64 s21, v2
	s_cbranch_execz .LBB86_34
; %bb.10:
	s_cmp_lt_i32 s22, 1
	s_cbranch_scc1 .LBB86_34
; %bb.11:
	s_load_b256 s[4:11], s[0:1], 0x28
	v_lshlrev_b32_e32 v2, 3, v2
	s_clause 0x1
	s_load_b128 s[12:15], s[0:1], 0x60
	s_load_b64 s[2:3], s[0:1], 0x48
	v_lshrrev_b32_e32 v10, 4, v1
	v_bfe_u32 v11, v1, 4, 1
	v_lshrrev_b32_e32 v1, 4, v0
	v_and_b32_e32 v12, 15, v0
	s_cmp_lg_u32 s19, 0
	s_delay_alu instid0(VALU_DEP_2) | instskip(SKIP_1) | instid1(VALU_DEP_2)
	v_mul_u32_u24_e32 v0, 48, v1
	v_lshlrev_b32_e32 v13, 6, v1
	v_or_b32_e32 v14, 0x100, v0
	s_delay_alu instid0(VALU_DEP_2)
	v_lshl_or_b32 v15, v12, 2, v13
	s_waitcnt lgkmcnt(0)
	global_load_b128 v[4:7], v2, s[4:5]
	s_cselect_b32 s4, -1, 0
	v_mad_u64_u32 v[2:3], null, v10, s14, 0
	s_cmp_lg_u32 s16, 1
	v_mad_u32_u24 v16, v12, 3, v14
	s_cselect_b32 s5, -1, 0
	s_cmp_eq_u32 s20, 0
	s_cselect_b32 s1, -1, 0
	s_waitcnt vmcnt(0)
	s_delay_alu instid0(VALU_DEP_2) | instskip(SKIP_3) | instid1(VALU_DEP_2)
	v_mad_u64_u32 v[8:9], null, v10, s15, v[3:4]
	v_cndmask_b32_e64 v9, 0, 1, s1
	v_cmp_lt_i64_e64 s0, v[4:5], v[6:7]
	s_and_b32 s1, s1, exec_lo
	v_lshlrev_b32_e32 v21, v9, v11
	s_delay_alu instid0(VALU_DEP_4) | instskip(NEXT) | instid1(VALU_DEP_1)
	v_dual_mov_b32 v3, v8 :: v_dual_lshlrev_b32 v8, 2, v10
	v_lshlrev_b64 v[0:1], 2, v[2:3]
	s_delay_alu instid0(VALU_DEP_1) | instskip(NEXT) | instid1(VALU_DEP_2)
	v_add_co_u32 v17, vcc_lo, s12, v0
	v_add_co_ci_u32_e32 v18, vcc_lo, s13, v1, vcc_lo
	v_sub_co_u32 v0, vcc_lo, v4, s17
	v_subrev_co_ci_u32_e32 v1, vcc_lo, 0, v5, vcc_lo
	v_sub_co_u32 v2, vcc_lo, v6, s17
	v_add_co_u32 v19, s12, s12, v8
	v_subrev_co_ci_u32_e32 v3, vcc_lo, 0, v7, vcc_lo
	v_add_co_ci_u32_e64 v20, null, s13, 0, s12
	s_mov_b32 s12, 0
	s_cselect_b32 s13, 1, 2
	s_branch .LBB86_13
.LBB86_12:                              ;   in Loop: Header=BB86_13 Depth=1
	s_or_b32 exec_lo, exec_lo, s1
	s_add_i32 s12, s12, 16
	s_delay_alu instid0(SALU_CYCLE_1)
	s_cmp_lt_i32 s12, s22
	s_cbranch_scc0 .LBB86_34
.LBB86_13:                              ; =>This Loop Header: Depth=1
                                        ;     Child Loop BB86_16 Depth 2
                                        ;       Child Loop BB86_20 Depth 3
	v_or_b32_e32 v4, s12, v12
	v_mov_b32_e32 v22, 0
	s_delay_alu instid0(VALU_DEP_2)
	v_ashrrev_i32_e32 v5, 31, v4
	s_and_saveexec_b32 s16, s0
	s_cbranch_execz .LBB86_22
; %bb.14:                               ;   in Loop: Header=BB86_13 Depth=1
	v_add_co_u32 v6, s1, s10, v4
	v_dual_mov_b32 v22, 0 :: v_dual_mov_b32 v9, v1
	v_cmp_gt_i32_e32 vcc_lo, s22, v4
	v_add_co_ci_u32_e64 v7, s1, s11, v5, s1
	v_mov_b32_e32 v8, v0
	s_mov_b32 s20, 0
	s_branch .LBB86_16
.LBB86_15:                              ;   in Loop: Header=BB86_16 Depth=2
	s_or_b32 exec_lo, exec_lo, s1
	v_add_co_u32 v8, s1, v8, 16
	s_delay_alu instid0(VALU_DEP_1) | instskip(NEXT) | instid1(VALU_DEP_1)
	v_add_co_ci_u32_e64 v9, s1, 0, v9, s1
	v_cmp_ge_i64_e64 s1, v[8:9], v[2:3]
	s_delay_alu instid0(VALU_DEP_1) | instskip(NEXT) | instid1(SALU_CYCLE_1)
	s_or_b32 s20, s1, s20
	s_and_not1_b32 exec_lo, exec_lo, s20
	s_cbranch_execz .LBB86_21
.LBB86_16:                              ;   Parent Loop BB86_13 Depth=1
                                        ; =>  This Loop Header: Depth=2
                                        ;       Child Loop BB86_20 Depth 3
	s_delay_alu instid0(VALU_DEP_1) | instskip(NEXT) | instid1(VALU_DEP_1)
	v_add_co_u32 v10, s1, v8, v12
	v_add_co_ci_u32_e64 v11, s1, 0, v9, s1
	v_dual_mov_b32 v25, 0 :: v_dual_mov_b32 v24, 0
	v_mov_b32_e32 v23, 0
	s_mov_b32 s21, exec_lo
	s_delay_alu instid0(VALU_DEP_3)
	v_cmpx_lt_i64_e64 v[10:11], v[2:3]
	s_cbranch_execz .LBB86_18
; %bb.17:                               ;   in Loop: Header=BB86_16 Depth=2
	v_lshlrev_b64 v[10:11], 2, v[10:11]
	s_delay_alu instid0(VALU_DEP_1) | instskip(NEXT) | instid1(VALU_DEP_1)
	v_add_co_u32 v23, s1, s6, v10
	v_add_co_ci_u32_e64 v24, s1, s7, v11, s1
	v_or_b32_e32 v10, v10, v21
	v_or_b32_e32 v11, 0, v11
	global_load_b32 v26, v[23:24], off
	v_or_b32_e32 v24, s13, v10
	v_or_b32_e32 v23, 0, v11
	v_add_co_u32 v10, s1, s8, v10
	s_delay_alu instid0(VALU_DEP_1) | instskip(NEXT) | instid1(VALU_DEP_4)
	v_add_co_ci_u32_e64 v11, s1, s9, v11, s1
	v_add_co_u32 v24, s1, s8, v24
	s_delay_alu instid0(VALU_DEP_1)
	v_add_co_ci_u32_e64 v25, s1, s9, v23, s1
	s_clause 0x1
	global_load_u8 v23, v[10:11], off
	global_load_u8 v24, v[24:25], off
	s_waitcnt vmcnt(2)
	v_subrev_nc_u32_e32 v10, s17, v26
	s_delay_alu instid0(VALU_DEP_1)
	v_lshlrev_b32_e32 v25, 1, v10
.LBB86_18:                              ;   in Loop: Header=BB86_16 Depth=2
	s_or_b32 exec_lo, exec_lo, s21
	ds_store_b32 v15, v25
	s_waitcnt vmcnt(1)
	ds_store_b8 v16, v23
	s_waitcnt vmcnt(0)
	ds_store_b8 v16, v24 offset:1
	s_waitcnt lgkmcnt(0)
	s_waitcnt_vscnt null, 0x0
	s_barrier
	buffer_gl0_inv
	s_and_saveexec_b32 s1, vcc_lo
	s_cbranch_execz .LBB86_15
; %bb.19:                               ;   in Loop: Header=BB86_16 Depth=2
	v_mov_b32_e32 v10, v14
	s_mov_b32 s21, 0
.LBB86_20:                              ;   Parent Loop BB86_13 Depth=1
                                        ;     Parent Loop BB86_16 Depth=2
                                        ; =>    This Inner Loop Header: Depth=3
	s_delay_alu instid0(SALU_CYCLE_1) | instskip(SKIP_1) | instid1(SALU_CYCLE_1)
	v_add_nc_u32_e32 v11, s21, v13
	s_add_i32 s21, s21, 8
	s_cmp_lg_u32 s21, 64
	ds_load_b64 v[23:24], v11
	s_waitcnt lgkmcnt(0)
	v_add_nc_u32_e32 v29, 1, v23
	v_add_nc_u32_e32 v33, 1, v24
	v_ashrrev_i32_e32 v11, 31, v23
	v_ashrrev_i32_e32 v30, 31, v24
	v_mul_lo_u32 v31, v23, s3
	v_ashrrev_i32_e32 v34, 31, v29
	v_ashrrev_i32_e32 v37, 31, v33
	v_mad_u64_u32 v[25:26], null, v23, s2, v[6:7]
	v_mul_lo_u32 v11, v11, s2
	v_mul_lo_u32 v32, v24, s3
	v_mad_u64_u32 v[27:28], null, v24, s2, v[6:7]
	v_mul_lo_u32 v35, v29, s3
	v_mad_u64_u32 v[23:24], null, v29, s2, v[6:7]
	v_mul_lo_u32 v36, v30, s2
	v_mul_lo_u32 v38, v33, s3
	v_mad_u64_u32 v[29:30], null, v33, s2, v[6:7]
	v_mul_lo_u32 v33, v34, s2
	v_mul_lo_u32 v34, v37, s2
	v_add3_u32 v26, v11, v26, v31
	v_add3_u32 v28, v36, v28, v32
	s_delay_alu instid0(VALU_DEP_4) | instskip(NEXT) | instid1(VALU_DEP_4)
	v_add3_u32 v24, v33, v24, v35
	v_add3_u32 v30, v34, v30, v38
	s_clause 0x3
	global_load_i8 v11, v[25:26], off
	global_load_i8 v23, v[23:24], off
	global_load_i8 v24, v[27:28], off
	global_load_i8 v25, v[29:30], off
	ds_load_u16 v26, v10
	ds_load_i8 v27, v10 offset:3
	ds_load_i8 v28, v10 offset:4
	v_add_nc_u32_e32 v10, 6, v10
	s_waitcnt lgkmcnt(2)
	v_perm_b32 v26, v26, v26, 0xc0c0100
	s_waitcnt lgkmcnt(0)
	v_perm_b32 v27, v28, v27, 0x4000c0c
	s_waitcnt vmcnt(2)
	v_perm_b32 v11, v23, v11, 0xc0c0400
	s_waitcnt vmcnt(0)
	v_perm_b32 v23, v25, v24, 0x4000c0c
	v_or_b32_e32 v24, v27, v26
	s_delay_alu instid0(VALU_DEP_2) | instskip(NEXT) | instid1(VALU_DEP_1)
	v_or_b32_e32 v11, v23, v11
	v_dot4_i32_iu8 v22, v24, v11, v22 neg_lo:[1,1,0]
	s_cbranch_scc1 .LBB86_20
	s_branch .LBB86_15
.LBB86_21:                              ;   in Loop: Header=BB86_13 Depth=1
	s_or_b32 exec_lo, exec_lo, s20
.LBB86_22:                              ;   in Loop: Header=BB86_13 Depth=1
	s_delay_alu instid0(SALU_CYCLE_1) | instskip(NEXT) | instid1(SALU_CYCLE_1)
	s_or_b32 exec_lo, exec_lo, s16
	s_mov_b32 s1, exec_lo
	v_cmpx_gt_i32_e64 s22, v4
	s_cbranch_execz .LBB86_12
; %bb.23:                               ;   in Loop: Header=BB86_13 Depth=1
	s_and_b32 vcc_lo, exec_lo, s4
	s_cbranch_vccz .LBB86_29
; %bb.24:                               ;   in Loop: Header=BB86_13 Depth=1
	s_and_b32 vcc_lo, exec_lo, s5
	s_mov_b32 s16, -1
	s_cbranch_vccz .LBB86_26
; %bb.25:                               ;   in Loop: Header=BB86_13 Depth=1
	v_lshlrev_b64 v[6:7], 2, v[4:5]
	v_mul_lo_u32 v8, v22, s18
	s_mov_b32 s16, 0
	s_delay_alu instid0(VALU_DEP_2) | instskip(NEXT) | instid1(VALU_DEP_3)
	v_add_co_u32 v6, vcc_lo, v17, v6
	v_add_co_ci_u32_e32 v7, vcc_lo, v18, v7, vcc_lo
	global_load_b32 v11, v[6:7], off
	s_waitcnt vmcnt(0)
	v_mad_u64_u32 v[9:10], null, v11, s19, v[8:9]
	global_store_b32 v[6:7], v9, off
.LBB86_26:                              ;   in Loop: Header=BB86_13 Depth=1
	s_and_not1_b32 vcc_lo, exec_lo, s16
	s_cbranch_vccnz .LBB86_28
; %bb.27:                               ;   in Loop: Header=BB86_13 Depth=1
	v_mul_lo_u32 v8, v5, s14
	v_mul_lo_u32 v9, v4, s15
	v_mad_u64_u32 v[6:7], null, v4, s14, 0
	s_delay_alu instid0(VALU_DEP_1) | instskip(SKIP_1) | instid1(VALU_DEP_2)
	v_add3_u32 v7, v7, v9, v8
	v_mul_lo_u32 v8, v22, s18
	v_lshlrev_b64 v[6:7], 2, v[6:7]
	s_delay_alu instid0(VALU_DEP_1) | instskip(NEXT) | instid1(VALU_DEP_2)
	v_add_co_u32 v6, vcc_lo, v19, v6
	v_add_co_ci_u32_e32 v7, vcc_lo, v20, v7, vcc_lo
	global_load_b32 v11, v[6:7], off
	s_waitcnt vmcnt(0)
	v_mad_u64_u32 v[9:10], null, v11, s19, v[8:9]
	global_store_b32 v[6:7], v9, off
.LBB86_28:                              ;   in Loop: Header=BB86_13 Depth=1
	s_cbranch_execnz .LBB86_12
	s_branch .LBB86_30
.LBB86_29:                              ;   in Loop: Header=BB86_13 Depth=1
.LBB86_30:                              ;   in Loop: Header=BB86_13 Depth=1
	v_mul_lo_u32 v6, v22, s18
	s_and_b32 vcc_lo, exec_lo, s5
	s_mov_b32 s16, -1
	s_cbranch_vccz .LBB86_32
; %bb.31:                               ;   in Loop: Header=BB86_13 Depth=1
	v_lshlrev_b64 v[7:8], 2, v[4:5]
	s_mov_b32 s16, 0
	s_delay_alu instid0(VALU_DEP_1) | instskip(NEXT) | instid1(VALU_DEP_2)
	v_add_co_u32 v7, vcc_lo, v17, v7
	v_add_co_ci_u32_e32 v8, vcc_lo, v18, v8, vcc_lo
	global_store_b32 v[7:8], v6, off
.LBB86_32:                              ;   in Loop: Header=BB86_13 Depth=1
	s_and_not1_b32 vcc_lo, exec_lo, s16
	s_cbranch_vccnz .LBB86_12
; %bb.33:                               ;   in Loop: Header=BB86_13 Depth=1
	v_mul_lo_u32 v5, v5, s14
	v_mul_lo_u32 v9, v4, s15
	v_mad_u64_u32 v[7:8], null, v4, s14, 0
	s_delay_alu instid0(VALU_DEP_1) | instskip(NEXT) | instid1(VALU_DEP_1)
	v_add3_u32 v8, v8, v9, v5
	v_lshlrev_b64 v[4:5], 2, v[7:8]
	s_delay_alu instid0(VALU_DEP_1) | instskip(NEXT) | instid1(VALU_DEP_2)
	v_add_co_u32 v4, vcc_lo, v19, v4
	v_add_co_ci_u32_e32 v5, vcc_lo, v20, v5, vcc_lo
	global_store_b32 v[4:5], v6, off
	s_branch .LBB86_12
.LBB86_34:
	s_nop 0
	s_sendmsg sendmsg(MSG_DEALLOC_VGPRS)
	s_endpgm
	.section	.rodata,"a",@progbits
	.p2align	6, 0x0
	.amdhsa_kernel _ZN9rocsparseL29bsrmmnt_small_blockdim_kernelILj64ELj16ELj2EliaaiiEEv20rocsparse_direction_T3_S2_llNS_24const_host_device_scalarIT7_EEPKT2_PKS2_PKT4_PKT5_llS5_PT6_ll16rocsparse_order_21rocsparse_index_base_b
		.amdhsa_group_segment_fixed_size 448
		.amdhsa_private_segment_fixed_size 0
		.amdhsa_kernarg_size 392
		.amdhsa_user_sgpr_count 15
		.amdhsa_user_sgpr_dispatch_ptr 0
		.amdhsa_user_sgpr_queue_ptr 0
		.amdhsa_user_sgpr_kernarg_segment_ptr 1
		.amdhsa_user_sgpr_dispatch_id 0
		.amdhsa_user_sgpr_private_segment_size 0
		.amdhsa_wavefront_size32 1
		.amdhsa_uses_dynamic_stack 0
		.amdhsa_enable_private_segment 0
		.amdhsa_system_sgpr_workgroup_id_x 1
		.amdhsa_system_sgpr_workgroup_id_y 0
		.amdhsa_system_sgpr_workgroup_id_z 0
		.amdhsa_system_sgpr_workgroup_info 0
		.amdhsa_system_vgpr_workitem_id 0
		.amdhsa_next_free_vgpr 39
		.amdhsa_next_free_sgpr 24
		.amdhsa_reserve_vcc 1
		.amdhsa_float_round_mode_32 0
		.amdhsa_float_round_mode_16_64 0
		.amdhsa_float_denorm_mode_32 3
		.amdhsa_float_denorm_mode_16_64 3
		.amdhsa_dx10_clamp 1
		.amdhsa_ieee_mode 1
		.amdhsa_fp16_overflow 0
		.amdhsa_workgroup_processor_mode 1
		.amdhsa_memory_ordered 1
		.amdhsa_forward_progress 0
		.amdhsa_shared_vgpr_count 0
		.amdhsa_exception_fp_ieee_invalid_op 0
		.amdhsa_exception_fp_denorm_src 0
		.amdhsa_exception_fp_ieee_div_zero 0
		.amdhsa_exception_fp_ieee_overflow 0
		.amdhsa_exception_fp_ieee_underflow 0
		.amdhsa_exception_fp_ieee_inexact 0
		.amdhsa_exception_int_div_zero 0
	.end_amdhsa_kernel
	.section	.text._ZN9rocsparseL29bsrmmnt_small_blockdim_kernelILj64ELj16ELj2EliaaiiEEv20rocsparse_direction_T3_S2_llNS_24const_host_device_scalarIT7_EEPKT2_PKS2_PKT4_PKT5_llS5_PT6_ll16rocsparse_order_21rocsparse_index_base_b,"axG",@progbits,_ZN9rocsparseL29bsrmmnt_small_blockdim_kernelILj64ELj16ELj2EliaaiiEEv20rocsparse_direction_T3_S2_llNS_24const_host_device_scalarIT7_EEPKT2_PKS2_PKT4_PKT5_llS5_PT6_ll16rocsparse_order_21rocsparse_index_base_b,comdat
.Lfunc_end86:
	.size	_ZN9rocsparseL29bsrmmnt_small_blockdim_kernelILj64ELj16ELj2EliaaiiEEv20rocsparse_direction_T3_S2_llNS_24const_host_device_scalarIT7_EEPKT2_PKS2_PKT4_PKT5_llS5_PT6_ll16rocsparse_order_21rocsparse_index_base_b, .Lfunc_end86-_ZN9rocsparseL29bsrmmnt_small_blockdim_kernelILj64ELj16ELj2EliaaiiEEv20rocsparse_direction_T3_S2_llNS_24const_host_device_scalarIT7_EEPKT2_PKS2_PKT4_PKT5_llS5_PT6_ll16rocsparse_order_21rocsparse_index_base_b
                                        ; -- End function
	.section	.AMDGPU.csdata,"",@progbits
; Kernel info:
; codeLenInByte = 1616
; NumSgprs: 26
; NumVgprs: 39
; ScratchSize: 0
; MemoryBound: 0
; FloatMode: 240
; IeeeMode: 1
; LDSByteSize: 448 bytes/workgroup (compile time only)
; SGPRBlocks: 3
; VGPRBlocks: 4
; NumSGPRsForWavesPerEU: 26
; NumVGPRsForWavesPerEU: 39
; Occupancy: 16
; WaveLimiterHint : 0
; COMPUTE_PGM_RSRC2:SCRATCH_EN: 0
; COMPUTE_PGM_RSRC2:USER_SGPR: 15
; COMPUTE_PGM_RSRC2:TRAP_HANDLER: 0
; COMPUTE_PGM_RSRC2:TGID_X_EN: 1
; COMPUTE_PGM_RSRC2:TGID_Y_EN: 0
; COMPUTE_PGM_RSRC2:TGID_Z_EN: 0
; COMPUTE_PGM_RSRC2:TIDIG_COMP_CNT: 0
	.section	.text._ZN9rocsparseL29bsrmmnt_small_blockdim_kernelILj64ELj32ELj2EliaaiiEEv20rocsparse_direction_T3_S2_llNS_24const_host_device_scalarIT7_EEPKT2_PKS2_PKT4_PKT5_llS5_PT6_ll16rocsparse_order_21rocsparse_index_base_b,"axG",@progbits,_ZN9rocsparseL29bsrmmnt_small_blockdim_kernelILj64ELj32ELj2EliaaiiEEv20rocsparse_direction_T3_S2_llNS_24const_host_device_scalarIT7_EEPKT2_PKS2_PKT4_PKT5_llS5_PT6_ll16rocsparse_order_21rocsparse_index_base_b,comdat
	.globl	_ZN9rocsparseL29bsrmmnt_small_blockdim_kernelILj64ELj32ELj2EliaaiiEEv20rocsparse_direction_T3_S2_llNS_24const_host_device_scalarIT7_EEPKT2_PKS2_PKT4_PKT5_llS5_PT6_ll16rocsparse_order_21rocsparse_index_base_b ; -- Begin function _ZN9rocsparseL29bsrmmnt_small_blockdim_kernelILj64ELj32ELj2EliaaiiEEv20rocsparse_direction_T3_S2_llNS_24const_host_device_scalarIT7_EEPKT2_PKS2_PKT4_PKT5_llS5_PT6_ll16rocsparse_order_21rocsparse_index_base_b
	.p2align	8
	.type	_ZN9rocsparseL29bsrmmnt_small_blockdim_kernelILj64ELj32ELj2EliaaiiEEv20rocsparse_direction_T3_S2_llNS_24const_host_device_scalarIT7_EEPKT2_PKS2_PKT4_PKT5_llS5_PT6_ll16rocsparse_order_21rocsparse_index_base_b,@function
_ZN9rocsparseL29bsrmmnt_small_blockdim_kernelILj64ELj32ELj2EliaaiiEEv20rocsparse_direction_T3_S2_llNS_24const_host_device_scalarIT7_EEPKT2_PKS2_PKT4_PKT5_llS5_PT6_ll16rocsparse_order_21rocsparse_index_base_b: ; @_ZN9rocsparseL29bsrmmnt_small_blockdim_kernelILj64ELj32ELj2EliaaiiEEv20rocsparse_direction_T3_S2_llNS_24const_host_device_scalarIT7_EEPKT2_PKS2_PKT4_PKT5_llS5_PT6_ll16rocsparse_order_21rocsparse_index_base_b
; %bb.0:
	s_clause 0x1
	s_load_b128 s[16:19], s[0:1], 0x78
	s_load_b64 s[4:5], s[0:1], 0x20
	s_mov_b32 s7, -1
	s_waitcnt lgkmcnt(0)
	s_bitcmp1_b32 s18, 0
                                        ; implicit-def: $sgpr18
	s_cselect_b32 s2, -1, 0
	s_delay_alu instid0(SALU_CYCLE_1) | instskip(NEXT) | instid1(SALU_CYCLE_1)
	s_xor_b32 s6, s2, -1
	s_and_b32 vcc_lo, exec_lo, s6
	s_cbranch_vccnz .LBB87_4
; %bb.1:
	s_load_b64 s[2:3], s[0:1], 0x58
	s_and_not1_b32 vcc_lo, exec_lo, s7
	s_cbranch_vccz .LBB87_5
.LBB87_2:
	s_and_b32 vcc_lo, exec_lo, s6
	s_cbranch_vccz .LBB87_6
.LBB87_3:
	s_waitcnt lgkmcnt(0)
	s_load_b32 s19, s[2:3], 0x0
	s_cbranch_execz .LBB87_7
	s_branch .LBB87_8
.LBB87_4:
	s_load_b32 s18, s[4:5], 0x0
	s_load_b64 s[2:3], s[0:1], 0x58
	s_cbranch_execnz .LBB87_2
.LBB87_5:
	s_waitcnt lgkmcnt(0)
	s_mov_b32 s18, s4
	s_and_b32 vcc_lo, exec_lo, s6
	s_cbranch_vccnz .LBB87_3
.LBB87_6:
	s_waitcnt lgkmcnt(0)
                                        ; implicit-def: $sgpr19
.LBB87_7:
	s_waitcnt lgkmcnt(0)
	s_mov_b32 s19, s2
.LBB87_8:
	s_cmp_eq_u32 s18, 0
	s_cselect_b32 s2, -1, 0
	s_waitcnt lgkmcnt(0)
	s_cmp_eq_u32 s19, 1
	s_cselect_b32 s3, -1, 0
	s_delay_alu instid0(SALU_CYCLE_1) | instskip(NEXT) | instid1(SALU_CYCLE_1)
	s_and_b32 s2, s2, s3
	s_and_b32 vcc_lo, exec_lo, s2
	s_cbranch_vccnz .LBB87_34
; %bb.9:
	s_clause 0x1
	s_load_b32 s2, s[0:1], 0x94
	s_load_b128 s[20:23], s[0:1], 0x0
	s_waitcnt lgkmcnt(0)
	s_and_b32 s2, s2, 0xffff
	s_delay_alu instid0(SALU_CYCLE_1) | instskip(SKIP_1) | instid1(VALU_DEP_1)
	v_mad_u64_u32 v[1:2], null, s15, s2, v[0:1]
	s_mov_b32 s2, exec_lo
	v_lshrrev_b32_e32 v2, 6, v1
	s_delay_alu instid0(VALU_DEP_1)
	v_cmpx_gt_i32_e64 s21, v2
	s_cbranch_execz .LBB87_34
; %bb.10:
	s_cmp_lt_i32 s22, 1
	s_cbranch_scc1 .LBB87_34
; %bb.11:
	s_load_b256 s[4:11], s[0:1], 0x28
	v_lshlrev_b32_e32 v2, 3, v2
	s_clause 0x1
	s_load_b128 s[12:15], s[0:1], 0x60
	s_load_b64 s[2:3], s[0:1], 0x48
	v_lshrrev_b32_e32 v10, 5, v1
	v_bfe_u32 v11, v1, 5, 1
	v_lshrrev_b32_e32 v1, 5, v0
	v_and_b32_e32 v12, 31, v0
	s_cmp_lg_u32 s19, 0
	s_delay_alu instid0(VALU_DEP_2) | instskip(SKIP_1) | instid1(VALU_DEP_2)
	v_mul_u32_u24_e32 v0, 0x60, v1
	v_lshlrev_b32_e32 v13, 7, v1
	v_or_b32_e32 v14, 0x100, v0
	s_delay_alu instid0(VALU_DEP_2)
	v_lshl_or_b32 v15, v12, 2, v13
	s_waitcnt lgkmcnt(0)
	global_load_b128 v[4:7], v2, s[4:5]
	s_cselect_b32 s4, -1, 0
	v_mad_u64_u32 v[2:3], null, v10, s14, 0
	s_cmp_lg_u32 s16, 1
	v_mad_u32_u24 v16, v12, 3, v14
	s_cselect_b32 s5, -1, 0
	s_cmp_eq_u32 s20, 0
	s_cselect_b32 s1, -1, 0
	s_waitcnt vmcnt(0)
	s_delay_alu instid0(VALU_DEP_2) | instskip(SKIP_3) | instid1(VALU_DEP_2)
	v_mad_u64_u32 v[8:9], null, v10, s15, v[3:4]
	v_cndmask_b32_e64 v9, 0, 1, s1
	v_cmp_lt_i64_e64 s0, v[4:5], v[6:7]
	s_and_b32 s1, s1, exec_lo
	v_lshlrev_b32_e32 v21, v9, v11
	s_delay_alu instid0(VALU_DEP_4) | instskip(NEXT) | instid1(VALU_DEP_1)
	v_dual_mov_b32 v3, v8 :: v_dual_lshlrev_b32 v8, 2, v10
	v_lshlrev_b64 v[0:1], 2, v[2:3]
	s_delay_alu instid0(VALU_DEP_1) | instskip(NEXT) | instid1(VALU_DEP_2)
	v_add_co_u32 v17, vcc_lo, s12, v0
	v_add_co_ci_u32_e32 v18, vcc_lo, s13, v1, vcc_lo
	v_sub_co_u32 v0, vcc_lo, v4, s17
	v_subrev_co_ci_u32_e32 v1, vcc_lo, 0, v5, vcc_lo
	v_sub_co_u32 v2, vcc_lo, v6, s17
	v_add_co_u32 v19, s12, s12, v8
	v_subrev_co_ci_u32_e32 v3, vcc_lo, 0, v7, vcc_lo
	v_add_co_ci_u32_e64 v20, null, s13, 0, s12
	s_mov_b32 s12, 0
	s_cselect_b32 s13, 1, 2
	s_branch .LBB87_13
.LBB87_12:                              ;   in Loop: Header=BB87_13 Depth=1
	s_or_b32 exec_lo, exec_lo, s1
	s_add_i32 s12, s12, 32
	s_delay_alu instid0(SALU_CYCLE_1)
	s_cmp_lt_i32 s12, s22
	s_cbranch_scc0 .LBB87_34
.LBB87_13:                              ; =>This Loop Header: Depth=1
                                        ;     Child Loop BB87_16 Depth 2
                                        ;       Child Loop BB87_20 Depth 3
	v_or_b32_e32 v4, s12, v12
	v_mov_b32_e32 v22, 0
	s_delay_alu instid0(VALU_DEP_2)
	v_ashrrev_i32_e32 v5, 31, v4
	s_and_saveexec_b32 s16, s0
	s_cbranch_execz .LBB87_22
; %bb.14:                               ;   in Loop: Header=BB87_13 Depth=1
	v_add_co_u32 v6, s1, s10, v4
	v_dual_mov_b32 v22, 0 :: v_dual_mov_b32 v9, v1
	v_cmp_gt_i32_e32 vcc_lo, s22, v4
	v_add_co_ci_u32_e64 v7, s1, s11, v5, s1
	v_mov_b32_e32 v8, v0
	s_mov_b32 s20, 0
	s_branch .LBB87_16
.LBB87_15:                              ;   in Loop: Header=BB87_16 Depth=2
	s_or_b32 exec_lo, exec_lo, s1
	v_add_co_u32 v8, s1, v8, 32
	s_delay_alu instid0(VALU_DEP_1) | instskip(NEXT) | instid1(VALU_DEP_1)
	v_add_co_ci_u32_e64 v9, s1, 0, v9, s1
	v_cmp_ge_i64_e64 s1, v[8:9], v[2:3]
	s_delay_alu instid0(VALU_DEP_1) | instskip(NEXT) | instid1(SALU_CYCLE_1)
	s_or_b32 s20, s1, s20
	s_and_not1_b32 exec_lo, exec_lo, s20
	s_cbranch_execz .LBB87_21
.LBB87_16:                              ;   Parent Loop BB87_13 Depth=1
                                        ; =>  This Loop Header: Depth=2
                                        ;       Child Loop BB87_20 Depth 3
	s_delay_alu instid0(VALU_DEP_1) | instskip(NEXT) | instid1(VALU_DEP_1)
	v_add_co_u32 v10, s1, v8, v12
	v_add_co_ci_u32_e64 v11, s1, 0, v9, s1
	v_dual_mov_b32 v25, 0 :: v_dual_mov_b32 v24, 0
	v_mov_b32_e32 v23, 0
	s_mov_b32 s21, exec_lo
	s_delay_alu instid0(VALU_DEP_3)
	v_cmpx_lt_i64_e64 v[10:11], v[2:3]
	s_cbranch_execz .LBB87_18
; %bb.17:                               ;   in Loop: Header=BB87_16 Depth=2
	v_lshlrev_b64 v[10:11], 2, v[10:11]
	s_delay_alu instid0(VALU_DEP_1) | instskip(NEXT) | instid1(VALU_DEP_1)
	v_add_co_u32 v23, s1, s6, v10
	v_add_co_ci_u32_e64 v24, s1, s7, v11, s1
	v_or_b32_e32 v10, v10, v21
	v_or_b32_e32 v11, 0, v11
	global_load_b32 v26, v[23:24], off
	v_or_b32_e32 v24, s13, v10
	v_or_b32_e32 v23, 0, v11
	v_add_co_u32 v10, s1, s8, v10
	s_delay_alu instid0(VALU_DEP_1) | instskip(NEXT) | instid1(VALU_DEP_4)
	v_add_co_ci_u32_e64 v11, s1, s9, v11, s1
	v_add_co_u32 v24, s1, s8, v24
	s_delay_alu instid0(VALU_DEP_1)
	v_add_co_ci_u32_e64 v25, s1, s9, v23, s1
	s_clause 0x1
	global_load_u8 v23, v[10:11], off
	global_load_u8 v24, v[24:25], off
	s_waitcnt vmcnt(2)
	v_subrev_nc_u32_e32 v10, s17, v26
	s_delay_alu instid0(VALU_DEP_1)
	v_lshlrev_b32_e32 v25, 1, v10
.LBB87_18:                              ;   in Loop: Header=BB87_16 Depth=2
	s_or_b32 exec_lo, exec_lo, s21
	ds_store_b32 v15, v25
	s_waitcnt vmcnt(1)
	ds_store_b8 v16, v23
	s_waitcnt vmcnt(0)
	ds_store_b8 v16, v24 offset:1
	s_waitcnt lgkmcnt(0)
	s_waitcnt_vscnt null, 0x0
	s_barrier
	buffer_gl0_inv
	s_and_saveexec_b32 s1, vcc_lo
	s_cbranch_execz .LBB87_15
; %bb.19:                               ;   in Loop: Header=BB87_16 Depth=2
	v_mov_b32_e32 v10, v14
	s_mov_b32 s21, 0
.LBB87_20:                              ;   Parent Loop BB87_13 Depth=1
                                        ;     Parent Loop BB87_16 Depth=2
                                        ; =>    This Inner Loop Header: Depth=3
	s_delay_alu instid0(SALU_CYCLE_1) | instskip(SKIP_1) | instid1(SALU_CYCLE_1)
	v_add_nc_u32_e32 v11, s21, v13
	s_add_i32 s21, s21, 8
	s_cmpk_lg_i32 s21, 0x80
	ds_load_b64 v[23:24], v11
	s_waitcnt lgkmcnt(0)
	v_add_nc_u32_e32 v29, 1, v23
	v_add_nc_u32_e32 v33, 1, v24
	v_ashrrev_i32_e32 v11, 31, v23
	v_ashrrev_i32_e32 v30, 31, v24
	v_mul_lo_u32 v31, v23, s3
	v_ashrrev_i32_e32 v34, 31, v29
	v_ashrrev_i32_e32 v37, 31, v33
	v_mad_u64_u32 v[25:26], null, v23, s2, v[6:7]
	v_mul_lo_u32 v11, v11, s2
	v_mul_lo_u32 v32, v24, s3
	v_mad_u64_u32 v[27:28], null, v24, s2, v[6:7]
	v_mul_lo_u32 v35, v29, s3
	v_mad_u64_u32 v[23:24], null, v29, s2, v[6:7]
	v_mul_lo_u32 v36, v30, s2
	v_mul_lo_u32 v38, v33, s3
	v_mad_u64_u32 v[29:30], null, v33, s2, v[6:7]
	v_mul_lo_u32 v33, v34, s2
	v_mul_lo_u32 v34, v37, s2
	v_add3_u32 v26, v11, v26, v31
	v_add3_u32 v28, v36, v28, v32
	s_delay_alu instid0(VALU_DEP_4) | instskip(NEXT) | instid1(VALU_DEP_4)
	v_add3_u32 v24, v33, v24, v35
	v_add3_u32 v30, v34, v30, v38
	s_clause 0x3
	global_load_i8 v11, v[25:26], off
	global_load_i8 v23, v[23:24], off
	global_load_i8 v24, v[27:28], off
	global_load_i8 v25, v[29:30], off
	ds_load_u16 v26, v10
	ds_load_i8 v27, v10 offset:3
	ds_load_i8 v28, v10 offset:4
	v_add_nc_u32_e32 v10, 6, v10
	s_waitcnt lgkmcnt(2)
	v_perm_b32 v26, v26, v26, 0xc0c0100
	s_waitcnt lgkmcnt(0)
	v_perm_b32 v27, v28, v27, 0x4000c0c
	s_waitcnt vmcnt(2)
	v_perm_b32 v11, v23, v11, 0xc0c0400
	s_waitcnt vmcnt(0)
	v_perm_b32 v23, v25, v24, 0x4000c0c
	v_or_b32_e32 v24, v27, v26
	s_delay_alu instid0(VALU_DEP_2) | instskip(NEXT) | instid1(VALU_DEP_1)
	v_or_b32_e32 v11, v23, v11
	v_dot4_i32_iu8 v22, v24, v11, v22 neg_lo:[1,1,0]
	s_cbranch_scc1 .LBB87_20
	s_branch .LBB87_15
.LBB87_21:                              ;   in Loop: Header=BB87_13 Depth=1
	s_or_b32 exec_lo, exec_lo, s20
.LBB87_22:                              ;   in Loop: Header=BB87_13 Depth=1
	s_delay_alu instid0(SALU_CYCLE_1) | instskip(NEXT) | instid1(SALU_CYCLE_1)
	s_or_b32 exec_lo, exec_lo, s16
	s_mov_b32 s1, exec_lo
	v_cmpx_gt_i32_e64 s22, v4
	s_cbranch_execz .LBB87_12
; %bb.23:                               ;   in Loop: Header=BB87_13 Depth=1
	s_and_b32 vcc_lo, exec_lo, s4
	s_cbranch_vccz .LBB87_29
; %bb.24:                               ;   in Loop: Header=BB87_13 Depth=1
	s_and_b32 vcc_lo, exec_lo, s5
	s_mov_b32 s16, -1
	s_cbranch_vccz .LBB87_26
; %bb.25:                               ;   in Loop: Header=BB87_13 Depth=1
	v_lshlrev_b64 v[6:7], 2, v[4:5]
	v_mul_lo_u32 v8, v22, s18
	s_mov_b32 s16, 0
	s_delay_alu instid0(VALU_DEP_2) | instskip(NEXT) | instid1(VALU_DEP_3)
	v_add_co_u32 v6, vcc_lo, v17, v6
	v_add_co_ci_u32_e32 v7, vcc_lo, v18, v7, vcc_lo
	global_load_b32 v11, v[6:7], off
	s_waitcnt vmcnt(0)
	v_mad_u64_u32 v[9:10], null, v11, s19, v[8:9]
	global_store_b32 v[6:7], v9, off
.LBB87_26:                              ;   in Loop: Header=BB87_13 Depth=1
	s_and_not1_b32 vcc_lo, exec_lo, s16
	s_cbranch_vccnz .LBB87_28
; %bb.27:                               ;   in Loop: Header=BB87_13 Depth=1
	v_mul_lo_u32 v8, v5, s14
	v_mul_lo_u32 v9, v4, s15
	v_mad_u64_u32 v[6:7], null, v4, s14, 0
	s_delay_alu instid0(VALU_DEP_1) | instskip(SKIP_1) | instid1(VALU_DEP_2)
	v_add3_u32 v7, v7, v9, v8
	v_mul_lo_u32 v8, v22, s18
	v_lshlrev_b64 v[6:7], 2, v[6:7]
	s_delay_alu instid0(VALU_DEP_1) | instskip(NEXT) | instid1(VALU_DEP_2)
	v_add_co_u32 v6, vcc_lo, v19, v6
	v_add_co_ci_u32_e32 v7, vcc_lo, v20, v7, vcc_lo
	global_load_b32 v11, v[6:7], off
	s_waitcnt vmcnt(0)
	v_mad_u64_u32 v[9:10], null, v11, s19, v[8:9]
	global_store_b32 v[6:7], v9, off
.LBB87_28:                              ;   in Loop: Header=BB87_13 Depth=1
	s_cbranch_execnz .LBB87_12
	s_branch .LBB87_30
.LBB87_29:                              ;   in Loop: Header=BB87_13 Depth=1
.LBB87_30:                              ;   in Loop: Header=BB87_13 Depth=1
	v_mul_lo_u32 v6, v22, s18
	s_and_b32 vcc_lo, exec_lo, s5
	s_mov_b32 s16, -1
	s_cbranch_vccz .LBB87_32
; %bb.31:                               ;   in Loop: Header=BB87_13 Depth=1
	v_lshlrev_b64 v[7:8], 2, v[4:5]
	s_mov_b32 s16, 0
	s_delay_alu instid0(VALU_DEP_1) | instskip(NEXT) | instid1(VALU_DEP_2)
	v_add_co_u32 v7, vcc_lo, v17, v7
	v_add_co_ci_u32_e32 v8, vcc_lo, v18, v8, vcc_lo
	global_store_b32 v[7:8], v6, off
.LBB87_32:                              ;   in Loop: Header=BB87_13 Depth=1
	s_and_not1_b32 vcc_lo, exec_lo, s16
	s_cbranch_vccnz .LBB87_12
; %bb.33:                               ;   in Loop: Header=BB87_13 Depth=1
	v_mul_lo_u32 v5, v5, s14
	v_mul_lo_u32 v9, v4, s15
	v_mad_u64_u32 v[7:8], null, v4, s14, 0
	s_delay_alu instid0(VALU_DEP_1) | instskip(NEXT) | instid1(VALU_DEP_1)
	v_add3_u32 v8, v8, v9, v5
	v_lshlrev_b64 v[4:5], 2, v[7:8]
	s_delay_alu instid0(VALU_DEP_1) | instskip(NEXT) | instid1(VALU_DEP_2)
	v_add_co_u32 v4, vcc_lo, v19, v4
	v_add_co_ci_u32_e32 v5, vcc_lo, v20, v5, vcc_lo
	global_store_b32 v[4:5], v6, off
	s_branch .LBB87_12
.LBB87_34:
	s_nop 0
	s_sendmsg sendmsg(MSG_DEALLOC_VGPRS)
	s_endpgm
	.section	.rodata,"a",@progbits
	.p2align	6, 0x0
	.amdhsa_kernel _ZN9rocsparseL29bsrmmnt_small_blockdim_kernelILj64ELj32ELj2EliaaiiEEv20rocsparse_direction_T3_S2_llNS_24const_host_device_scalarIT7_EEPKT2_PKS2_PKT4_PKT5_llS5_PT6_ll16rocsparse_order_21rocsparse_index_base_b
		.amdhsa_group_segment_fixed_size 448
		.amdhsa_private_segment_fixed_size 0
		.amdhsa_kernarg_size 392
		.amdhsa_user_sgpr_count 15
		.amdhsa_user_sgpr_dispatch_ptr 0
		.amdhsa_user_sgpr_queue_ptr 0
		.amdhsa_user_sgpr_kernarg_segment_ptr 1
		.amdhsa_user_sgpr_dispatch_id 0
		.amdhsa_user_sgpr_private_segment_size 0
		.amdhsa_wavefront_size32 1
		.amdhsa_uses_dynamic_stack 0
		.amdhsa_enable_private_segment 0
		.amdhsa_system_sgpr_workgroup_id_x 1
		.amdhsa_system_sgpr_workgroup_id_y 0
		.amdhsa_system_sgpr_workgroup_id_z 0
		.amdhsa_system_sgpr_workgroup_info 0
		.amdhsa_system_vgpr_workitem_id 0
		.amdhsa_next_free_vgpr 39
		.amdhsa_next_free_sgpr 24
		.amdhsa_reserve_vcc 1
		.amdhsa_float_round_mode_32 0
		.amdhsa_float_round_mode_16_64 0
		.amdhsa_float_denorm_mode_32 3
		.amdhsa_float_denorm_mode_16_64 3
		.amdhsa_dx10_clamp 1
		.amdhsa_ieee_mode 1
		.amdhsa_fp16_overflow 0
		.amdhsa_workgroup_processor_mode 1
		.amdhsa_memory_ordered 1
		.amdhsa_forward_progress 0
		.amdhsa_shared_vgpr_count 0
		.amdhsa_exception_fp_ieee_invalid_op 0
		.amdhsa_exception_fp_denorm_src 0
		.amdhsa_exception_fp_ieee_div_zero 0
		.amdhsa_exception_fp_ieee_overflow 0
		.amdhsa_exception_fp_ieee_underflow 0
		.amdhsa_exception_fp_ieee_inexact 0
		.amdhsa_exception_int_div_zero 0
	.end_amdhsa_kernel
	.section	.text._ZN9rocsparseL29bsrmmnt_small_blockdim_kernelILj64ELj32ELj2EliaaiiEEv20rocsparse_direction_T3_S2_llNS_24const_host_device_scalarIT7_EEPKT2_PKS2_PKT4_PKT5_llS5_PT6_ll16rocsparse_order_21rocsparse_index_base_b,"axG",@progbits,_ZN9rocsparseL29bsrmmnt_small_blockdim_kernelILj64ELj32ELj2EliaaiiEEv20rocsparse_direction_T3_S2_llNS_24const_host_device_scalarIT7_EEPKT2_PKS2_PKT4_PKT5_llS5_PT6_ll16rocsparse_order_21rocsparse_index_base_b,comdat
.Lfunc_end87:
	.size	_ZN9rocsparseL29bsrmmnt_small_blockdim_kernelILj64ELj32ELj2EliaaiiEEv20rocsparse_direction_T3_S2_llNS_24const_host_device_scalarIT7_EEPKT2_PKS2_PKT4_PKT5_llS5_PT6_ll16rocsparse_order_21rocsparse_index_base_b, .Lfunc_end87-_ZN9rocsparseL29bsrmmnt_small_blockdim_kernelILj64ELj32ELj2EliaaiiEEv20rocsparse_direction_T3_S2_llNS_24const_host_device_scalarIT7_EEPKT2_PKS2_PKT4_PKT5_llS5_PT6_ll16rocsparse_order_21rocsparse_index_base_b
                                        ; -- End function
	.section	.AMDGPU.csdata,"",@progbits
; Kernel info:
; codeLenInByte = 1620
; NumSgprs: 26
; NumVgprs: 39
; ScratchSize: 0
; MemoryBound: 0
; FloatMode: 240
; IeeeMode: 1
; LDSByteSize: 448 bytes/workgroup (compile time only)
; SGPRBlocks: 3
; VGPRBlocks: 4
; NumSGPRsForWavesPerEU: 26
; NumVGPRsForWavesPerEU: 39
; Occupancy: 16
; WaveLimiterHint : 0
; COMPUTE_PGM_RSRC2:SCRATCH_EN: 0
; COMPUTE_PGM_RSRC2:USER_SGPR: 15
; COMPUTE_PGM_RSRC2:TRAP_HANDLER: 0
; COMPUTE_PGM_RSRC2:TGID_X_EN: 1
; COMPUTE_PGM_RSRC2:TGID_Y_EN: 0
; COMPUTE_PGM_RSRC2:TGID_Z_EN: 0
; COMPUTE_PGM_RSRC2:TIDIG_COMP_CNT: 0
	.section	.text._ZN9rocsparseL29bsrmmnt_small_blockdim_kernelILj64ELj64ELj2EliaaiiEEv20rocsparse_direction_T3_S2_llNS_24const_host_device_scalarIT7_EEPKT2_PKS2_PKT4_PKT5_llS5_PT6_ll16rocsparse_order_21rocsparse_index_base_b,"axG",@progbits,_ZN9rocsparseL29bsrmmnt_small_blockdim_kernelILj64ELj64ELj2EliaaiiEEv20rocsparse_direction_T3_S2_llNS_24const_host_device_scalarIT7_EEPKT2_PKS2_PKT4_PKT5_llS5_PT6_ll16rocsparse_order_21rocsparse_index_base_b,comdat
	.globl	_ZN9rocsparseL29bsrmmnt_small_blockdim_kernelILj64ELj64ELj2EliaaiiEEv20rocsparse_direction_T3_S2_llNS_24const_host_device_scalarIT7_EEPKT2_PKS2_PKT4_PKT5_llS5_PT6_ll16rocsparse_order_21rocsparse_index_base_b ; -- Begin function _ZN9rocsparseL29bsrmmnt_small_blockdim_kernelILj64ELj64ELj2EliaaiiEEv20rocsparse_direction_T3_S2_llNS_24const_host_device_scalarIT7_EEPKT2_PKS2_PKT4_PKT5_llS5_PT6_ll16rocsparse_order_21rocsparse_index_base_b
	.p2align	8
	.type	_ZN9rocsparseL29bsrmmnt_small_blockdim_kernelILj64ELj64ELj2EliaaiiEEv20rocsparse_direction_T3_S2_llNS_24const_host_device_scalarIT7_EEPKT2_PKS2_PKT4_PKT5_llS5_PT6_ll16rocsparse_order_21rocsparse_index_base_b,@function
_ZN9rocsparseL29bsrmmnt_small_blockdim_kernelILj64ELj64ELj2EliaaiiEEv20rocsparse_direction_T3_S2_llNS_24const_host_device_scalarIT7_EEPKT2_PKS2_PKT4_PKT5_llS5_PT6_ll16rocsparse_order_21rocsparse_index_base_b: ; @_ZN9rocsparseL29bsrmmnt_small_blockdim_kernelILj64ELj64ELj2EliaaiiEEv20rocsparse_direction_T3_S2_llNS_24const_host_device_scalarIT7_EEPKT2_PKS2_PKT4_PKT5_llS5_PT6_ll16rocsparse_order_21rocsparse_index_base_b
; %bb.0:
	s_clause 0x1
	s_load_b128 s[16:19], s[0:1], 0x78
	s_load_b64 s[4:5], s[0:1], 0x20
	s_mov_b32 s7, -1
	s_waitcnt lgkmcnt(0)
	s_bitcmp1_b32 s18, 0
                                        ; implicit-def: $sgpr18
	s_cselect_b32 s2, -1, 0
	s_delay_alu instid0(SALU_CYCLE_1) | instskip(NEXT) | instid1(SALU_CYCLE_1)
	s_xor_b32 s6, s2, -1
	s_and_b32 vcc_lo, exec_lo, s6
	s_cbranch_vccnz .LBB88_4
; %bb.1:
	s_load_b64 s[2:3], s[0:1], 0x58
	s_and_not1_b32 vcc_lo, exec_lo, s7
	s_cbranch_vccz .LBB88_5
.LBB88_2:
	s_and_b32 vcc_lo, exec_lo, s6
	s_cbranch_vccz .LBB88_6
.LBB88_3:
	s_waitcnt lgkmcnt(0)
	s_load_b32 s19, s[2:3], 0x0
	s_cbranch_execz .LBB88_7
	s_branch .LBB88_8
.LBB88_4:
	s_load_b32 s18, s[4:5], 0x0
	s_load_b64 s[2:3], s[0:1], 0x58
	s_cbranch_execnz .LBB88_2
.LBB88_5:
	s_waitcnt lgkmcnt(0)
	s_mov_b32 s18, s4
	s_and_b32 vcc_lo, exec_lo, s6
	s_cbranch_vccnz .LBB88_3
.LBB88_6:
	s_waitcnt lgkmcnt(0)
                                        ; implicit-def: $sgpr19
.LBB88_7:
	s_waitcnt lgkmcnt(0)
	s_mov_b32 s19, s2
.LBB88_8:
	s_cmp_eq_u32 s18, 0
	s_cselect_b32 s2, -1, 0
	s_waitcnt lgkmcnt(0)
	s_cmp_eq_u32 s19, 1
	s_cselect_b32 s3, -1, 0
	s_delay_alu instid0(SALU_CYCLE_1) | instskip(NEXT) | instid1(SALU_CYCLE_1)
	s_and_b32 s2, s2, s3
	s_and_b32 vcc_lo, exec_lo, s2
	s_cbranch_vccnz .LBB88_34
; %bb.9:
	s_clause 0x1
	s_load_b32 s2, s[0:1], 0x94
	s_load_b128 s[20:23], s[0:1], 0x0
	s_waitcnt lgkmcnt(0)
	s_and_b32 s2, s2, 0xffff
	s_delay_alu instid0(SALU_CYCLE_1) | instskip(SKIP_1) | instid1(VALU_DEP_1)
	v_mad_u64_u32 v[1:2], null, s15, s2, v[0:1]
	s_mov_b32 s2, exec_lo
	v_lshrrev_b32_e32 v2, 7, v1
	s_delay_alu instid0(VALU_DEP_1)
	v_cmpx_gt_i32_e64 s21, v2
	s_cbranch_execz .LBB88_34
; %bb.10:
	s_cmp_lt_i32 s22, 1
	s_cbranch_scc1 .LBB88_34
; %bb.11:
	s_load_b256 s[4:11], s[0:1], 0x28
	v_lshlrev_b32_e32 v2, 3, v2
	s_clause 0x1
	s_load_b128 s[12:15], s[0:1], 0x60
	s_load_b64 s[2:3], s[0:1], 0x48
	v_lshrrev_b32_e32 v4, 6, v1
	s_cmp_lg_u32 s19, 0
	v_mul_u32_u24_e32 v11, 3, v0
	v_lshlrev_b32_e32 v13, 2, v0
	s_delay_alu instid0(VALU_DEP_2)
	v_or_b32_e32 v14, 0x100, v11
	s_waitcnt lgkmcnt(0)
	global_load_b128 v[5:8], v2, s[4:5]
	s_cselect_b32 s4, -1, 0
	v_mad_u64_u32 v[2:3], null, v4, s14, 0
	s_cmp_lg_u32 s16, 1
	s_cselect_b32 s5, -1, 0
	s_cmp_eq_u32 s20, 0
	s_cselect_b32 s1, -1, 0
	s_delay_alu instid0(VALU_DEP_1) | instskip(SKIP_3) | instid1(VALU_DEP_1)
	v_mad_u64_u32 v[9:10], null, v4, s15, v[3:4]
	v_bfe_u32 v10, v1, 6, 1
	v_cndmask_b32_e64 v11, 0, 1, s1
	s_and_b32 s1, s1, exec_lo
	v_lshlrev_b32_e32 v19, v11, v10
	s_delay_alu instid0(VALU_DEP_4) | instskip(SKIP_1) | instid1(VALU_DEP_2)
	v_mov_b32_e32 v3, v9
	v_lshlrev_b32_e32 v9, 2, v4
	v_lshlrev_b64 v[1:2], 2, v[2:3]
	s_delay_alu instid0(VALU_DEP_1) | instskip(NEXT) | instid1(VALU_DEP_2)
	v_add_co_u32 v15, vcc_lo, s12, v1
	v_add_co_ci_u32_e32 v16, vcc_lo, s13, v2, vcc_lo
	s_delay_alu instid0(VALU_DEP_4) | instskip(NEXT) | instid1(VALU_DEP_1)
	v_add_co_u32 v17, s12, s12, v9
	v_add_co_ci_u32_e64 v18, null, s13, 0, s12
	s_mov_b32 s12, 0
	s_cselect_b32 s13, 1, 2
	s_waitcnt vmcnt(0)
	v_sub_co_u32 v1, vcc_lo, v5, s17
	v_subrev_co_ci_u32_e32 v2, vcc_lo, 0, v6, vcc_lo
	v_sub_co_u32 v3, vcc_lo, v7, s17
	v_cmp_lt_i64_e64 s0, v[5:6], v[7:8]
	v_subrev_co_ci_u32_e32 v4, vcc_lo, 0, v8, vcc_lo
	s_branch .LBB88_13
.LBB88_12:                              ;   in Loop: Header=BB88_13 Depth=1
	s_or_b32 exec_lo, exec_lo, s1
	s_add_i32 s12, s12, 64
	s_delay_alu instid0(SALU_CYCLE_1)
	s_cmp_lt_i32 s12, s22
	s_cbranch_scc0 .LBB88_34
.LBB88_13:                              ; =>This Loop Header: Depth=1
                                        ;     Child Loop BB88_16 Depth 2
                                        ;       Child Loop BB88_20 Depth 3
	v_or_b32_e32 v5, s12, v0
	v_mov_b32_e32 v20, 0
	s_delay_alu instid0(VALU_DEP_2)
	v_ashrrev_i32_e32 v6, 31, v5
	s_and_saveexec_b32 s16, s0
	s_cbranch_execz .LBB88_22
; %bb.14:                               ;   in Loop: Header=BB88_13 Depth=1
	v_add_co_u32 v7, s1, s10, v5
	v_mov_b32_e32 v10, v2
	v_cmp_gt_i32_e32 vcc_lo, s22, v5
	v_add_co_ci_u32_e64 v8, s1, s11, v6, s1
	v_dual_mov_b32 v20, 0 :: v_dual_mov_b32 v9, v1
	s_mov_b32 s20, 0
	s_branch .LBB88_16
.LBB88_15:                              ;   in Loop: Header=BB88_16 Depth=2
	s_or_b32 exec_lo, exec_lo, s1
	v_add_co_u32 v9, s1, v9, 64
	s_delay_alu instid0(VALU_DEP_1) | instskip(NEXT) | instid1(VALU_DEP_1)
	v_add_co_ci_u32_e64 v10, s1, 0, v10, s1
	v_cmp_ge_i64_e64 s1, v[9:10], v[3:4]
	s_delay_alu instid0(VALU_DEP_1) | instskip(NEXT) | instid1(SALU_CYCLE_1)
	s_or_b32 s20, s1, s20
	s_and_not1_b32 exec_lo, exec_lo, s20
	s_cbranch_execz .LBB88_21
.LBB88_16:                              ;   Parent Loop BB88_13 Depth=1
                                        ; =>  This Loop Header: Depth=2
                                        ;       Child Loop BB88_20 Depth 3
	s_delay_alu instid0(VALU_DEP_1) | instskip(NEXT) | instid1(VALU_DEP_1)
	v_add_co_u32 v11, s1, v9, v0
	v_add_co_ci_u32_e64 v12, s1, 0, v10, s1
	v_dual_mov_b32 v23, 0 :: v_dual_mov_b32 v22, 0
	v_mov_b32_e32 v21, 0
	s_mov_b32 s21, exec_lo
	s_delay_alu instid0(VALU_DEP_3)
	v_cmpx_lt_i64_e64 v[11:12], v[3:4]
	s_cbranch_execz .LBB88_18
; %bb.17:                               ;   in Loop: Header=BB88_16 Depth=2
	v_lshlrev_b64 v[11:12], 2, v[11:12]
	s_delay_alu instid0(VALU_DEP_1) | instskip(NEXT) | instid1(VALU_DEP_1)
	v_add_co_u32 v21, s1, s6, v11
	v_add_co_ci_u32_e64 v22, s1, s7, v12, s1
	v_or_b32_e32 v11, v11, v19
	v_or_b32_e32 v12, 0, v12
	global_load_b32 v24, v[21:22], off
	v_or_b32_e32 v22, s13, v11
	v_or_b32_e32 v21, 0, v12
	v_add_co_u32 v11, s1, s8, v11
	s_delay_alu instid0(VALU_DEP_1) | instskip(NEXT) | instid1(VALU_DEP_4)
	v_add_co_ci_u32_e64 v12, s1, s9, v12, s1
	v_add_co_u32 v22, s1, s8, v22
	s_delay_alu instid0(VALU_DEP_1)
	v_add_co_ci_u32_e64 v23, s1, s9, v21, s1
	s_clause 0x1
	global_load_u8 v21, v[11:12], off
	global_load_u8 v22, v[22:23], off
	s_waitcnt vmcnt(2)
	v_subrev_nc_u32_e32 v11, s17, v24
	s_delay_alu instid0(VALU_DEP_1)
	v_lshlrev_b32_e32 v23, 1, v11
.LBB88_18:                              ;   in Loop: Header=BB88_16 Depth=2
	s_or_b32 exec_lo, exec_lo, s21
	ds_store_b32 v13, v23
	s_waitcnt vmcnt(1)
	ds_store_b8 v14, v21
	s_waitcnt vmcnt(0)
	ds_store_b8 v14, v22 offset:1
	s_waitcnt lgkmcnt(0)
	s_waitcnt_vscnt null, 0x0
	s_barrier
	buffer_gl0_inv
	s_and_saveexec_b32 s1, vcc_lo
	s_cbranch_execz .LBB88_15
; %bb.19:                               ;   in Loop: Header=BB88_16 Depth=2
	v_mov_b32_e32 v11, 0x100
	s_mov_b32 s21, 0
.LBB88_20:                              ;   Parent Loop BB88_13 Depth=1
                                        ;     Parent Loop BB88_16 Depth=2
                                        ; =>    This Inner Loop Header: Depth=3
	s_delay_alu instid0(SALU_CYCLE_1)
	v_mov_b32_e32 v12, s21
	s_add_i32 s21, s21, 8
	ds_load_b64 v[21:22], v12
	s_waitcnt lgkmcnt(0)
	v_readfirstlane_b32 s23, v21
	v_readfirstlane_b32 s24, v22
	s_delay_alu instid0(VALU_DEP_2)
	s_ashr_i32 s25, s23, 31
	v_mad_u64_u32 v[21:22], null, s23, s2, v[7:8]
	s_mul_i32 s26, s23, s3
	s_add_i32 s23, s23, 1
	s_ashr_i32 s27, s24, 31
	v_mad_u64_u32 v[23:24], null, s24, s2, v[7:8]
	s_mul_i32 s28, s24, s3
	s_add_i32 s24, s24, 1
	v_mad_u64_u32 v[25:26], null, s23, s2, v[7:8]
	v_mad_u64_u32 v[27:28], null, s24, s2, v[7:8]
	s_ashr_i32 s29, s23, 31
	s_mul_i32 s25, s25, s2
	s_mul_i32 s30, s23, s3
	s_ashr_i32 s23, s24, 31
	s_mul_i32 s29, s29, s2
	s_mul_i32 s27, s27, s2
	v_add3_u32 v22, s26, s25, v22
	s_mul_i32 s24, s24, s3
	s_mul_i32 s23, s23, s2
	v_add3_u32 v26, s30, s29, v26
	v_add3_u32 v24, s28, s27, v24
	;; [unrolled: 1-line block ×3, first 2 shown]
	s_clause 0x3
	global_load_i8 v12, v[21:22], off
	global_load_i8 v21, v[25:26], off
	;; [unrolled: 1-line block ×4, first 2 shown]
	ds_load_u16 v24, v11
	ds_load_i8 v25, v11 offset:3
	ds_load_i8 v26, v11 offset:4
	v_add_nc_u32_e32 v11, 6, v11
	s_cmpk_lg_i32 s21, 0x100
	s_waitcnt lgkmcnt(2)
	v_perm_b32 v24, v24, v24, 0xc0c0100
	s_waitcnt lgkmcnt(0)
	v_perm_b32 v25, v26, v25, 0x4000c0c
	s_waitcnt vmcnt(2)
	v_perm_b32 v12, v21, v12, 0xc0c0400
	s_waitcnt vmcnt(0)
	v_perm_b32 v21, v23, v22, 0x4000c0c
	v_or_b32_e32 v22, v25, v24
	s_delay_alu instid0(VALU_DEP_2) | instskip(NEXT) | instid1(VALU_DEP_1)
	v_or_b32_e32 v12, v21, v12
	v_dot4_i32_iu8 v20, v22, v12, v20 neg_lo:[1,1,0]
	s_cbranch_scc1 .LBB88_20
	s_branch .LBB88_15
.LBB88_21:                              ;   in Loop: Header=BB88_13 Depth=1
	s_or_b32 exec_lo, exec_lo, s20
.LBB88_22:                              ;   in Loop: Header=BB88_13 Depth=1
	s_delay_alu instid0(SALU_CYCLE_1) | instskip(NEXT) | instid1(SALU_CYCLE_1)
	s_or_b32 exec_lo, exec_lo, s16
	s_mov_b32 s1, exec_lo
	v_cmpx_gt_i32_e64 s22, v5
	s_cbranch_execz .LBB88_12
; %bb.23:                               ;   in Loop: Header=BB88_13 Depth=1
	s_and_b32 vcc_lo, exec_lo, s4
	s_cbranch_vccz .LBB88_29
; %bb.24:                               ;   in Loop: Header=BB88_13 Depth=1
	s_and_b32 vcc_lo, exec_lo, s5
	s_mov_b32 s16, -1
	s_cbranch_vccz .LBB88_26
; %bb.25:                               ;   in Loop: Header=BB88_13 Depth=1
	v_lshlrev_b64 v[7:8], 2, v[5:6]
	v_mul_lo_u32 v9, v20, s18
	s_mov_b32 s16, 0
	s_delay_alu instid0(VALU_DEP_2) | instskip(NEXT) | instid1(VALU_DEP_3)
	v_add_co_u32 v7, vcc_lo, v15, v7
	v_add_co_ci_u32_e32 v8, vcc_lo, v16, v8, vcc_lo
	global_load_b32 v12, v[7:8], off
	s_waitcnt vmcnt(0)
	v_mad_u64_u32 v[10:11], null, v12, s19, v[9:10]
	global_store_b32 v[7:8], v10, off
.LBB88_26:                              ;   in Loop: Header=BB88_13 Depth=1
	s_and_not1_b32 vcc_lo, exec_lo, s16
	s_cbranch_vccnz .LBB88_28
; %bb.27:                               ;   in Loop: Header=BB88_13 Depth=1
	v_mul_lo_u32 v9, v6, s14
	v_mul_lo_u32 v10, v5, s15
	v_mad_u64_u32 v[7:8], null, v5, s14, 0
	s_delay_alu instid0(VALU_DEP_1) | instskip(SKIP_1) | instid1(VALU_DEP_2)
	v_add3_u32 v8, v8, v10, v9
	v_mul_lo_u32 v9, v20, s18
	v_lshlrev_b64 v[7:8], 2, v[7:8]
	s_delay_alu instid0(VALU_DEP_1) | instskip(NEXT) | instid1(VALU_DEP_2)
	v_add_co_u32 v7, vcc_lo, v17, v7
	v_add_co_ci_u32_e32 v8, vcc_lo, v18, v8, vcc_lo
	global_load_b32 v12, v[7:8], off
	s_waitcnt vmcnt(0)
	v_mad_u64_u32 v[10:11], null, v12, s19, v[9:10]
	global_store_b32 v[7:8], v10, off
.LBB88_28:                              ;   in Loop: Header=BB88_13 Depth=1
	s_cbranch_execnz .LBB88_12
	s_branch .LBB88_30
.LBB88_29:                              ;   in Loop: Header=BB88_13 Depth=1
.LBB88_30:                              ;   in Loop: Header=BB88_13 Depth=1
	v_mul_lo_u32 v7, v20, s18
	s_and_b32 vcc_lo, exec_lo, s5
	s_mov_b32 s16, -1
	s_cbranch_vccz .LBB88_32
; %bb.31:                               ;   in Loop: Header=BB88_13 Depth=1
	v_lshlrev_b64 v[8:9], 2, v[5:6]
	s_mov_b32 s16, 0
	s_delay_alu instid0(VALU_DEP_1) | instskip(NEXT) | instid1(VALU_DEP_2)
	v_add_co_u32 v8, vcc_lo, v15, v8
	v_add_co_ci_u32_e32 v9, vcc_lo, v16, v9, vcc_lo
	global_store_b32 v[8:9], v7, off
.LBB88_32:                              ;   in Loop: Header=BB88_13 Depth=1
	s_and_not1_b32 vcc_lo, exec_lo, s16
	s_cbranch_vccnz .LBB88_12
; %bb.33:                               ;   in Loop: Header=BB88_13 Depth=1
	v_mul_lo_u32 v6, v6, s14
	v_mul_lo_u32 v10, v5, s15
	v_mad_u64_u32 v[8:9], null, v5, s14, 0
	s_delay_alu instid0(VALU_DEP_1) | instskip(NEXT) | instid1(VALU_DEP_1)
	v_add3_u32 v9, v9, v10, v6
	v_lshlrev_b64 v[5:6], 2, v[8:9]
	s_delay_alu instid0(VALU_DEP_1) | instskip(NEXT) | instid1(VALU_DEP_2)
	v_add_co_u32 v5, vcc_lo, v17, v5
	v_add_co_ci_u32_e32 v6, vcc_lo, v18, v6, vcc_lo
	global_store_b32 v[5:6], v7, off
	s_branch .LBB88_12
.LBB88_34:
	s_nop 0
	s_sendmsg sendmsg(MSG_DEALLOC_VGPRS)
	s_endpgm
	.section	.rodata,"a",@progbits
	.p2align	6, 0x0
	.amdhsa_kernel _ZN9rocsparseL29bsrmmnt_small_blockdim_kernelILj64ELj64ELj2EliaaiiEEv20rocsparse_direction_T3_S2_llNS_24const_host_device_scalarIT7_EEPKT2_PKS2_PKT4_PKT5_llS5_PT6_ll16rocsparse_order_21rocsparse_index_base_b
		.amdhsa_group_segment_fixed_size 448
		.amdhsa_private_segment_fixed_size 0
		.amdhsa_kernarg_size 392
		.amdhsa_user_sgpr_count 15
		.amdhsa_user_sgpr_dispatch_ptr 0
		.amdhsa_user_sgpr_queue_ptr 0
		.amdhsa_user_sgpr_kernarg_segment_ptr 1
		.amdhsa_user_sgpr_dispatch_id 0
		.amdhsa_user_sgpr_private_segment_size 0
		.amdhsa_wavefront_size32 1
		.amdhsa_uses_dynamic_stack 0
		.amdhsa_enable_private_segment 0
		.amdhsa_system_sgpr_workgroup_id_x 1
		.amdhsa_system_sgpr_workgroup_id_y 0
		.amdhsa_system_sgpr_workgroup_id_z 0
		.amdhsa_system_sgpr_workgroup_info 0
		.amdhsa_system_vgpr_workitem_id 0
		.amdhsa_next_free_vgpr 29
		.amdhsa_next_free_sgpr 31
		.amdhsa_reserve_vcc 1
		.amdhsa_float_round_mode_32 0
		.amdhsa_float_round_mode_16_64 0
		.amdhsa_float_denorm_mode_32 3
		.amdhsa_float_denorm_mode_16_64 3
		.amdhsa_dx10_clamp 1
		.amdhsa_ieee_mode 1
		.amdhsa_fp16_overflow 0
		.amdhsa_workgroup_processor_mode 1
		.amdhsa_memory_ordered 1
		.amdhsa_forward_progress 0
		.amdhsa_shared_vgpr_count 0
		.amdhsa_exception_fp_ieee_invalid_op 0
		.amdhsa_exception_fp_denorm_src 0
		.amdhsa_exception_fp_ieee_div_zero 0
		.amdhsa_exception_fp_ieee_overflow 0
		.amdhsa_exception_fp_ieee_underflow 0
		.amdhsa_exception_fp_ieee_inexact 0
		.amdhsa_exception_int_div_zero 0
	.end_amdhsa_kernel
	.section	.text._ZN9rocsparseL29bsrmmnt_small_blockdim_kernelILj64ELj64ELj2EliaaiiEEv20rocsparse_direction_T3_S2_llNS_24const_host_device_scalarIT7_EEPKT2_PKS2_PKT4_PKT5_llS5_PT6_ll16rocsparse_order_21rocsparse_index_base_b,"axG",@progbits,_ZN9rocsparseL29bsrmmnt_small_blockdim_kernelILj64ELj64ELj2EliaaiiEEv20rocsparse_direction_T3_S2_llNS_24const_host_device_scalarIT7_EEPKT2_PKS2_PKT4_PKT5_llS5_PT6_ll16rocsparse_order_21rocsparse_index_base_b,comdat
.Lfunc_end88:
	.size	_ZN9rocsparseL29bsrmmnt_small_blockdim_kernelILj64ELj64ELj2EliaaiiEEv20rocsparse_direction_T3_S2_llNS_24const_host_device_scalarIT7_EEPKT2_PKS2_PKT4_PKT5_llS5_PT6_ll16rocsparse_order_21rocsparse_index_base_b, .Lfunc_end88-_ZN9rocsparseL29bsrmmnt_small_blockdim_kernelILj64ELj64ELj2EliaaiiEEv20rocsparse_direction_T3_S2_llNS_24const_host_device_scalarIT7_EEPKT2_PKS2_PKT4_PKT5_llS5_PT6_ll16rocsparse_order_21rocsparse_index_base_b
                                        ; -- End function
	.section	.AMDGPU.csdata,"",@progbits
; Kernel info:
; codeLenInByte = 1572
; NumSgprs: 33
; NumVgprs: 29
; ScratchSize: 0
; MemoryBound: 0
; FloatMode: 240
; IeeeMode: 1
; LDSByteSize: 448 bytes/workgroup (compile time only)
; SGPRBlocks: 4
; VGPRBlocks: 3
; NumSGPRsForWavesPerEU: 33
; NumVGPRsForWavesPerEU: 29
; Occupancy: 16
; WaveLimiterHint : 0
; COMPUTE_PGM_RSRC2:SCRATCH_EN: 0
; COMPUTE_PGM_RSRC2:USER_SGPR: 15
; COMPUTE_PGM_RSRC2:TRAP_HANDLER: 0
; COMPUTE_PGM_RSRC2:TGID_X_EN: 1
; COMPUTE_PGM_RSRC2:TGID_Y_EN: 0
; COMPUTE_PGM_RSRC2:TGID_Z_EN: 0
; COMPUTE_PGM_RSRC2:TIDIG_COMP_CNT: 0
	.section	.text._ZN9rocsparseL29bsrmmnt_small_blockdim_kernelILj64ELj8ELj2EllaaiiEEv20rocsparse_direction_T3_S2_llNS_24const_host_device_scalarIT7_EEPKT2_PKS2_PKT4_PKT5_llS5_PT6_ll16rocsparse_order_21rocsparse_index_base_b,"axG",@progbits,_ZN9rocsparseL29bsrmmnt_small_blockdim_kernelILj64ELj8ELj2EllaaiiEEv20rocsparse_direction_T3_S2_llNS_24const_host_device_scalarIT7_EEPKT2_PKS2_PKT4_PKT5_llS5_PT6_ll16rocsparse_order_21rocsparse_index_base_b,comdat
	.globl	_ZN9rocsparseL29bsrmmnt_small_blockdim_kernelILj64ELj8ELj2EllaaiiEEv20rocsparse_direction_T3_S2_llNS_24const_host_device_scalarIT7_EEPKT2_PKS2_PKT4_PKT5_llS5_PT6_ll16rocsparse_order_21rocsparse_index_base_b ; -- Begin function _ZN9rocsparseL29bsrmmnt_small_blockdim_kernelILj64ELj8ELj2EllaaiiEEv20rocsparse_direction_T3_S2_llNS_24const_host_device_scalarIT7_EEPKT2_PKS2_PKT4_PKT5_llS5_PT6_ll16rocsparse_order_21rocsparse_index_base_b
	.p2align	8
	.type	_ZN9rocsparseL29bsrmmnt_small_blockdim_kernelILj64ELj8ELj2EllaaiiEEv20rocsparse_direction_T3_S2_llNS_24const_host_device_scalarIT7_EEPKT2_PKS2_PKT4_PKT5_llS5_PT6_ll16rocsparse_order_21rocsparse_index_base_b,@function
_ZN9rocsparseL29bsrmmnt_small_blockdim_kernelILj64ELj8ELj2EllaaiiEEv20rocsparse_direction_T3_S2_llNS_24const_host_device_scalarIT7_EEPKT2_PKS2_PKT4_PKT5_llS5_PT6_ll16rocsparse_order_21rocsparse_index_base_b: ; @_ZN9rocsparseL29bsrmmnt_small_blockdim_kernelILj64ELj8ELj2EllaaiiEEv20rocsparse_direction_T3_S2_llNS_24const_host_device_scalarIT7_EEPKT2_PKS2_PKT4_PKT5_llS5_PT6_ll16rocsparse_order_21rocsparse_index_base_b
; %bb.0:
	s_clause 0x1
	s_load_b128 s[20:23], s[0:1], 0x80
	s_load_b64 s[4:5], s[0:1], 0x28
	s_mov_b32 s7, -1
	s_waitcnt lgkmcnt(0)
	s_bitcmp1_b32 s22, 0
                                        ; implicit-def: $sgpr22
	s_cselect_b32 s2, -1, 0
	s_delay_alu instid0(SALU_CYCLE_1) | instskip(NEXT) | instid1(SALU_CYCLE_1)
	s_xor_b32 s6, s2, -1
	s_and_b32 vcc_lo, exec_lo, s6
	s_cbranch_vccnz .LBB89_4
; %bb.1:
	s_load_b64 s[2:3], s[0:1], 0x60
	s_and_not1_b32 vcc_lo, exec_lo, s7
	s_cbranch_vccz .LBB89_5
.LBB89_2:
	s_and_b32 vcc_lo, exec_lo, s6
	s_cbranch_vccz .LBB89_6
.LBB89_3:
	s_waitcnt lgkmcnt(0)
	s_load_b32 s3, s[2:3], 0x0
	s_cbranch_execz .LBB89_7
	s_branch .LBB89_8
.LBB89_4:
	s_load_b32 s22, s[4:5], 0x0
	s_load_b64 s[2:3], s[0:1], 0x60
	s_cbranch_execnz .LBB89_2
.LBB89_5:
	s_waitcnt lgkmcnt(0)
	s_mov_b32 s22, s4
	s_and_b32 vcc_lo, exec_lo, s6
	s_cbranch_vccnz .LBB89_3
.LBB89_6:
                                        ; implicit-def: $sgpr3
.LBB89_7:
	s_waitcnt lgkmcnt(0)
	s_mov_b32 s3, s2
.LBB89_8:
	s_waitcnt lgkmcnt(0)
	s_cmp_eq_u32 s22, 0
	s_cselect_b32 s2, -1, 0
	s_cmp_eq_u32 s3, 1
	s_cselect_b32 s4, -1, 0
	s_delay_alu instid0(SALU_CYCLE_1) | instskip(NEXT) | instid1(SALU_CYCLE_1)
	s_and_b32 s2, s2, s4
	s_and_b32 vcc_lo, exec_lo, s2
	s_cbranch_vccnz .LBB89_34
; %bb.9:
	s_clause 0x1
	s_load_b32 s2, s[0:1], 0x9c
	s_load_b128 s[16:19], s[0:1], 0x8
	v_mov_b32_e32 v3, 0
	s_waitcnt lgkmcnt(0)
	s_and_b32 s2, s2, 0xffff
	s_delay_alu instid0(SALU_CYCLE_1) | instskip(SKIP_1) | instid1(VALU_DEP_1)
	v_mad_u64_u32 v[1:2], null, s15, s2, v[0:1]
	s_mov_b32 s2, exec_lo
	v_lshrrev_b32_e32 v2, 4, v1
	s_delay_alu instid0(VALU_DEP_1)
	v_cmpx_gt_i64_e64 s[16:17], v[2:3]
	s_cbranch_execz .LBB89_34
; %bb.10:
	v_cmp_lt_i64_e64 s2, s[18:19], 1
	s_delay_alu instid0(VALU_DEP_1)
	s_and_b32 vcc_lo, exec_lo, s2
	s_cbranch_vccnz .LBB89_34
; %bb.11:
	s_load_b256 s[4:11], s[0:1], 0x30
	v_dual_mov_b32 v5, 0 :: v_dual_lshlrev_b32 v2, 3, v2
	s_load_b128 s[12:15], s[0:1], 0x68
	v_lshrrev_b32_e32 v12, 3, v1
	v_bfe_u32 v4, v1, 3, 1
	v_lshrrev_b32_e32 v1, 3, v0
	s_cmp_lg_u32 s3, 0
	s_mov_b32 s16, s21
	s_cselect_b32 s17, -1, 0
	s_cmp_lg_u32 s20, 1
	v_lshlrev_b32_e32 v17, 6, v1
	s_cselect_b32 s20, -1, 0
	s_waitcnt lgkmcnt(0)
	global_load_b128 v[6:9], v2, s[4:5]
	s_clause 0x1
	s_load_b64 s[4:5], s[0:1], 0x50
	s_load_b32 s0, s[0:1], 0x0
	v_mad_u64_u32 v[2:3], null, v12, s14, 0
	s_delay_alu instid0(VALU_DEP_1) | instskip(SKIP_2) | instid1(VALU_DEP_3)
	v_mad_u64_u32 v[10:11], null, v12, s15, v[3:4]
	v_and_b32_e32 v16, 7, v0
	v_mul_u32_u24_e32 v0, 24, v1
	v_mov_b32_e32 v3, v10
	s_delay_alu instid0(VALU_DEP_2)
	v_or_b32_e32 v18, 0x200, v0
	v_lshlrev_b32_e32 v10, 2, v12
	s_waitcnt lgkmcnt(0)
	s_cmp_eq_u32 s0, 0
	v_lshl_or_b32 v19, v16, 3, v17
	v_lshlrev_b64 v[2:3], 2, v[2:3]
	s_cselect_b32 s1, -1, 0
	v_add_co_u32 v23, s2, s12, v10
	v_cndmask_b32_e64 v0, 0, 1, s1
	v_mad_u32_u24 v20, v16, 3, v18
	s_delay_alu instid0(VALU_DEP_4) | instskip(SKIP_1) | instid1(VALU_DEP_4)
	v_add_co_u32 v21, vcc_lo, s12, v2
	v_add_co_ci_u32_e32 v22, vcc_lo, s13, v3, vcc_lo
	v_lshlrev_b64 v[0:1], v0, v[4:5]
	v_add_co_ci_u32_e64 v24, null, s13, 0, s2
	s_and_b32 s1, s1, exec_lo
	s_mov_b64 s[12:13], 0
	s_waitcnt vmcnt(0)
	v_sub_co_u32 v2, vcc_lo, v6, s21
	v_subrev_co_ci_u32_e32 v3, vcc_lo, 0, v7, vcc_lo
	v_sub_co_u32 v4, vcc_lo, v8, s21
	v_cmp_lt_i64_e64 s0, v[6:7], v[8:9]
	v_subrev_co_ci_u32_e32 v5, vcc_lo, 0, v9, vcc_lo
	s_cselect_b32 s21, 1, 2
	s_branch .LBB89_13
.LBB89_12:                              ;   in Loop: Header=BB89_13 Depth=1
	s_or_b32 exec_lo, exec_lo, s1
	s_add_u32 s12, s12, 8
	s_addc_u32 s13, s13, 0
	s_delay_alu instid0(SALU_CYCLE_1) | instskip(NEXT) | instid1(VALU_DEP_1)
	v_cmp_lt_i64_e64 s1, s[12:13], s[18:19]
	s_and_b32 vcc_lo, exec_lo, s1
	s_cbranch_vccz .LBB89_34
.LBB89_13:                              ; =>This Loop Header: Depth=1
                                        ;     Child Loop BB89_16 Depth 2
                                        ;       Child Loop BB89_20 Depth 3
	v_or_b32_e64 v7, s13, 0
	v_or_b32_e32 v6, s12, v16
	v_mov_b32_e32 v25, 0
	s_and_saveexec_b32 s23, s0
	s_cbranch_execz .LBB89_22
; %bb.14:                               ;   in Loop: Header=BB89_13 Depth=1
	s_delay_alu instid0(VALU_DEP_2)
	v_add_co_u32 v8, s1, s10, v6
	v_cmp_gt_i64_e32 vcc_lo, s[18:19], v[6:7]
	v_mov_b32_e32 v11, v3
	v_add_co_ci_u32_e64 v9, s1, s11, v7, s1
	v_dual_mov_b32 v25, 0 :: v_dual_mov_b32 v10, v2
	s_mov_b32 s24, 0
	s_branch .LBB89_16
.LBB89_15:                              ;   in Loop: Header=BB89_16 Depth=2
	s_or_b32 exec_lo, exec_lo, s25
	v_add_co_u32 v10, s1, v10, 8
	s_delay_alu instid0(VALU_DEP_1) | instskip(NEXT) | instid1(VALU_DEP_1)
	v_add_co_ci_u32_e64 v11, s1, 0, v11, s1
	v_cmp_ge_i64_e64 s1, v[10:11], v[4:5]
	s_delay_alu instid0(VALU_DEP_1) | instskip(NEXT) | instid1(SALU_CYCLE_1)
	s_or_b32 s24, s1, s24
	s_and_not1_b32 exec_lo, exec_lo, s24
	s_cbranch_execz .LBB89_21
.LBB89_16:                              ;   Parent Loop BB89_13 Depth=1
                                        ; =>  This Loop Header: Depth=2
                                        ;       Child Loop BB89_20 Depth 3
	s_delay_alu instid0(VALU_DEP_1) | instskip(SKIP_4) | instid1(VALU_DEP_2)
	v_add_co_u32 v12, s1, v10, v16
	v_dual_mov_b32 v14, 0 :: v_dual_mov_b32 v27, 0
	v_add_co_ci_u32_e64 v13, s1, 0, v11, s1
	v_dual_mov_b32 v15, 0 :: v_dual_mov_b32 v26, 0
	s_mov_b32 s2, exec_lo
	v_cmpx_lt_i64_e64 v[12:13], v[4:5]
	s_cbranch_execz .LBB89_18
; %bb.17:                               ;   in Loop: Header=BB89_16 Depth=2
	v_lshlrev_b64 v[14:15], 3, v[12:13]
	v_lshlrev_b64 v[12:13], 2, v[12:13]
	s_delay_alu instid0(VALU_DEP_2) | instskip(NEXT) | instid1(VALU_DEP_1)
	v_add_co_u32 v14, s1, s6, v14
	v_add_co_ci_u32_e64 v15, s1, s7, v15, s1
	s_delay_alu instid0(VALU_DEP_3) | instskip(NEXT) | instid1(VALU_DEP_4)
	v_or_b32_e32 v27, v12, v0
	v_or_b32_e32 v26, v13, v1
	global_load_b64 v[12:13], v[14:15], off
	v_or_b32_e32 v29, s21, v27
	v_or_b32_e32 v28, 0, v26
	v_add_co_u32 v14, s1, s8, v27
	s_delay_alu instid0(VALU_DEP_1) | instskip(NEXT) | instid1(VALU_DEP_4)
	v_add_co_ci_u32_e64 v15, s1, s9, v26, s1
	v_add_co_u32 v27, s1, s8, v29
	s_delay_alu instid0(VALU_DEP_1)
	v_add_co_ci_u32_e64 v28, s1, s9, v28, s1
	s_clause 0x1
	global_load_u8 v26, v[14:15], off
	global_load_u8 v27, v[27:28], off
	s_waitcnt vmcnt(2)
	v_sub_co_u32 v12, s1, v12, s16
	s_delay_alu instid0(VALU_DEP_1) | instskip(NEXT) | instid1(VALU_DEP_1)
	v_subrev_co_ci_u32_e64 v13, s1, 0, v13, s1
	v_lshlrev_b64 v[14:15], 1, v[12:13]
.LBB89_18:                              ;   in Loop: Header=BB89_16 Depth=2
	s_or_b32 exec_lo, exec_lo, s2
	ds_store_b64 v19, v[14:15]
	s_waitcnt vmcnt(1)
	ds_store_b8 v20, v26
	s_waitcnt vmcnt(0)
	ds_store_b8 v20, v27 offset:1
	s_waitcnt lgkmcnt(0)
	s_waitcnt_vscnt null, 0x0
	s_barrier
	buffer_gl0_inv
	s_and_saveexec_b32 s25, vcc_lo
	s_cbranch_execz .LBB89_15
; %bb.19:                               ;   in Loop: Header=BB89_16 Depth=2
	v_mov_b32_e32 v12, v17
	s_mov_b32 s26, 0
.LBB89_20:                              ;   Parent Loop BB89_13 Depth=1
                                        ;     Parent Loop BB89_16 Depth=2
                                        ; =>    This Inner Loop Header: Depth=3
	ds_load_b128 v[26:29], v12
	v_add_nc_u32_e32 v12, 16, v12
	s_waitcnt lgkmcnt(0)
	v_mad_u64_u32 v[13:14], null, v26, s4, v[8:9]
	v_mul_lo_u32 v15, v26, s5
	v_mul_lo_u32 v30, v27, s4
	v_mad_u64_u32 v[26:27], null, v28, s4, v[8:9]
	v_mul_lo_u32 v28, v28, s5
	v_mul_lo_u32 v29, v29, s4
	s_delay_alu instid0(VALU_DEP_4) | instskip(SKIP_1) | instid1(VALU_DEP_3)
	v_add3_u32 v14, v30, v14, v15
	v_add_co_u32 v30, s2, v13, s4
	v_add3_u32 v27, v29, v27, v28
	v_add_co_u32 v28, s1, v26, s4
	s_delay_alu instid0(VALU_DEP_4) | instskip(NEXT) | instid1(VALU_DEP_3)
	v_add_co_ci_u32_e64 v31, s2, s5, v14, s2
	v_add_co_ci_u32_e64 v29, s1, s5, v27, s1
	s_clause 0x3
	global_load_i8 v13, v[13:14], off
	global_load_i8 v14, v[26:27], off
	;; [unrolled: 1-line block ×4, first 2 shown]
	v_add_nc_u32_e32 v27, s26, v18
	ds_load_u16 v28, v27
	ds_load_i8 v29, v27 offset:3
	ds_load_i8 v27, v27 offset:4
	s_add_i32 s26, s26, 6
	s_delay_alu instid0(SALU_CYCLE_1)
	s_cmp_lg_u32 s26, 24
	s_waitcnt lgkmcnt(2)
	v_perm_b32 v28, v28, v28, 0xc0c0100
	s_waitcnt lgkmcnt(0)
	v_perm_b32 v27, v27, v29, 0x4000c0c
	s_waitcnt vmcnt(1)
	v_perm_b32 v13, v15, v13, 0xc0c0400
	s_waitcnt vmcnt(0)
	v_perm_b32 v14, v26, v14, 0x4000c0c
	v_or_b32_e32 v15, v27, v28
	s_delay_alu instid0(VALU_DEP_2) | instskip(NEXT) | instid1(VALU_DEP_1)
	v_or_b32_e32 v13, v14, v13
	v_dot4_i32_iu8 v25, v15, v13, v25 neg_lo:[1,1,0]
	s_cbranch_scc1 .LBB89_20
	s_branch .LBB89_15
.LBB89_21:                              ;   in Loop: Header=BB89_13 Depth=1
	s_or_b32 exec_lo, exec_lo, s24
.LBB89_22:                              ;   in Loop: Header=BB89_13 Depth=1
	s_delay_alu instid0(SALU_CYCLE_1) | instskip(NEXT) | instid1(SALU_CYCLE_1)
	s_or_b32 exec_lo, exec_lo, s23
	s_mov_b32 s1, exec_lo
	v_cmpx_gt_i64_e64 s[18:19], v[6:7]
	s_cbranch_execz .LBB89_12
; %bb.23:                               ;   in Loop: Header=BB89_13 Depth=1
	s_and_b32 vcc_lo, exec_lo, s17
	s_cbranch_vccz .LBB89_29
; %bb.24:                               ;   in Loop: Header=BB89_13 Depth=1
	s_and_b32 vcc_lo, exec_lo, s20
	s_mov_b32 s2, -1
	s_cbranch_vccz .LBB89_26
; %bb.25:                               ;   in Loop: Header=BB89_13 Depth=1
	v_lshlrev_b64 v[8:9], 2, v[6:7]
	v_mul_lo_u32 v10, v25, s22
	s_mov_b32 s2, 0
	s_delay_alu instid0(VALU_DEP_2) | instskip(NEXT) | instid1(VALU_DEP_3)
	v_add_co_u32 v8, vcc_lo, v21, v8
	v_add_co_ci_u32_e32 v9, vcc_lo, v22, v9, vcc_lo
	global_load_b32 v13, v[8:9], off
	s_waitcnt vmcnt(0)
	v_mad_u64_u32 v[11:12], null, v13, s3, v[10:11]
	global_store_b32 v[8:9], v11, off
.LBB89_26:                              ;   in Loop: Header=BB89_13 Depth=1
	s_and_not1_b32 vcc_lo, exec_lo, s2
	s_cbranch_vccnz .LBB89_28
; %bb.27:                               ;   in Loop: Header=BB89_13 Depth=1
	v_mul_lo_u32 v10, v7, s14
	v_mul_lo_u32 v11, v6, s15
	v_mad_u64_u32 v[8:9], null, v6, s14, 0
	s_delay_alu instid0(VALU_DEP_1) | instskip(SKIP_1) | instid1(VALU_DEP_2)
	v_add3_u32 v9, v9, v11, v10
	v_mul_lo_u32 v10, v25, s22
	v_lshlrev_b64 v[8:9], 2, v[8:9]
	s_delay_alu instid0(VALU_DEP_1) | instskip(NEXT) | instid1(VALU_DEP_2)
	v_add_co_u32 v8, vcc_lo, v23, v8
	v_add_co_ci_u32_e32 v9, vcc_lo, v24, v9, vcc_lo
	global_load_b32 v13, v[8:9], off
	s_waitcnt vmcnt(0)
	v_mad_u64_u32 v[11:12], null, v13, s3, v[10:11]
	global_store_b32 v[8:9], v11, off
.LBB89_28:                              ;   in Loop: Header=BB89_13 Depth=1
	s_cbranch_execnz .LBB89_12
	s_branch .LBB89_30
.LBB89_29:                              ;   in Loop: Header=BB89_13 Depth=1
.LBB89_30:                              ;   in Loop: Header=BB89_13 Depth=1
	v_mul_lo_u32 v8, v25, s22
	s_and_b32 vcc_lo, exec_lo, s20
	s_mov_b32 s2, -1
	s_cbranch_vccz .LBB89_32
; %bb.31:                               ;   in Loop: Header=BB89_13 Depth=1
	v_lshlrev_b64 v[9:10], 2, v[6:7]
	s_mov_b32 s2, 0
	s_delay_alu instid0(VALU_DEP_1) | instskip(NEXT) | instid1(VALU_DEP_2)
	v_add_co_u32 v9, vcc_lo, v21, v9
	v_add_co_ci_u32_e32 v10, vcc_lo, v22, v10, vcc_lo
	global_store_b32 v[9:10], v8, off
.LBB89_32:                              ;   in Loop: Header=BB89_13 Depth=1
	s_and_not1_b32 vcc_lo, exec_lo, s2
	s_cbranch_vccnz .LBB89_12
; %bb.33:                               ;   in Loop: Header=BB89_13 Depth=1
	v_mul_lo_u32 v7, v7, s14
	v_mul_lo_u32 v11, v6, s15
	v_mad_u64_u32 v[9:10], null, v6, s14, 0
	s_delay_alu instid0(VALU_DEP_1) | instskip(NEXT) | instid1(VALU_DEP_1)
	v_add3_u32 v10, v10, v11, v7
	v_lshlrev_b64 v[6:7], 2, v[9:10]
	s_delay_alu instid0(VALU_DEP_1) | instskip(NEXT) | instid1(VALU_DEP_2)
	v_add_co_u32 v6, vcc_lo, v23, v6
	v_add_co_ci_u32_e32 v7, vcc_lo, v24, v7, vcc_lo
	global_store_b32 v[6:7], v8, off
	s_branch .LBB89_12
.LBB89_34:
	s_nop 0
	s_sendmsg sendmsg(MSG_DEALLOC_VGPRS)
	s_endpgm
	.section	.rodata,"a",@progbits
	.p2align	6, 0x0
	.amdhsa_kernel _ZN9rocsparseL29bsrmmnt_small_blockdim_kernelILj64ELj8ELj2EllaaiiEEv20rocsparse_direction_T3_S2_llNS_24const_host_device_scalarIT7_EEPKT2_PKS2_PKT4_PKT5_llS5_PT6_ll16rocsparse_order_21rocsparse_index_base_b
		.amdhsa_group_segment_fixed_size 704
		.amdhsa_private_segment_fixed_size 0
		.amdhsa_kernarg_size 400
		.amdhsa_user_sgpr_count 15
		.amdhsa_user_sgpr_dispatch_ptr 0
		.amdhsa_user_sgpr_queue_ptr 0
		.amdhsa_user_sgpr_kernarg_segment_ptr 1
		.amdhsa_user_sgpr_dispatch_id 0
		.amdhsa_user_sgpr_private_segment_size 0
		.amdhsa_wavefront_size32 1
		.amdhsa_uses_dynamic_stack 0
		.amdhsa_enable_private_segment 0
		.amdhsa_system_sgpr_workgroup_id_x 1
		.amdhsa_system_sgpr_workgroup_id_y 0
		.amdhsa_system_sgpr_workgroup_id_z 0
		.amdhsa_system_sgpr_workgroup_info 0
		.amdhsa_system_vgpr_workitem_id 0
		.amdhsa_next_free_vgpr 32
		.amdhsa_next_free_sgpr 27
		.amdhsa_reserve_vcc 1
		.amdhsa_float_round_mode_32 0
		.amdhsa_float_round_mode_16_64 0
		.amdhsa_float_denorm_mode_32 3
		.amdhsa_float_denorm_mode_16_64 3
		.amdhsa_dx10_clamp 1
		.amdhsa_ieee_mode 1
		.amdhsa_fp16_overflow 0
		.amdhsa_workgroup_processor_mode 1
		.amdhsa_memory_ordered 1
		.amdhsa_forward_progress 0
		.amdhsa_shared_vgpr_count 0
		.amdhsa_exception_fp_ieee_invalid_op 0
		.amdhsa_exception_fp_denorm_src 0
		.amdhsa_exception_fp_ieee_div_zero 0
		.amdhsa_exception_fp_ieee_overflow 0
		.amdhsa_exception_fp_ieee_underflow 0
		.amdhsa_exception_fp_ieee_inexact 0
		.amdhsa_exception_int_div_zero 0
	.end_amdhsa_kernel
	.section	.text._ZN9rocsparseL29bsrmmnt_small_blockdim_kernelILj64ELj8ELj2EllaaiiEEv20rocsparse_direction_T3_S2_llNS_24const_host_device_scalarIT7_EEPKT2_PKS2_PKT4_PKT5_llS5_PT6_ll16rocsparse_order_21rocsparse_index_base_b,"axG",@progbits,_ZN9rocsparseL29bsrmmnt_small_blockdim_kernelILj64ELj8ELj2EllaaiiEEv20rocsparse_direction_T3_S2_llNS_24const_host_device_scalarIT7_EEPKT2_PKS2_PKT4_PKT5_llS5_PT6_ll16rocsparse_order_21rocsparse_index_base_b,comdat
.Lfunc_end89:
	.size	_ZN9rocsparseL29bsrmmnt_small_blockdim_kernelILj64ELj8ELj2EllaaiiEEv20rocsparse_direction_T3_S2_llNS_24const_host_device_scalarIT7_EEPKT2_PKS2_PKT4_PKT5_llS5_PT6_ll16rocsparse_order_21rocsparse_index_base_b, .Lfunc_end89-_ZN9rocsparseL29bsrmmnt_small_blockdim_kernelILj64ELj8ELj2EllaaiiEEv20rocsparse_direction_T3_S2_llNS_24const_host_device_scalarIT7_EEPKT2_PKS2_PKT4_PKT5_llS5_PT6_ll16rocsparse_order_21rocsparse_index_base_b
                                        ; -- End function
	.section	.AMDGPU.csdata,"",@progbits
; Kernel info:
; codeLenInByte = 1636
; NumSgprs: 29
; NumVgprs: 32
; ScratchSize: 0
; MemoryBound: 0
; FloatMode: 240
; IeeeMode: 1
; LDSByteSize: 704 bytes/workgroup (compile time only)
; SGPRBlocks: 3
; VGPRBlocks: 3
; NumSGPRsForWavesPerEU: 29
; NumVGPRsForWavesPerEU: 32
; Occupancy: 16
; WaveLimiterHint : 1
; COMPUTE_PGM_RSRC2:SCRATCH_EN: 0
; COMPUTE_PGM_RSRC2:USER_SGPR: 15
; COMPUTE_PGM_RSRC2:TRAP_HANDLER: 0
; COMPUTE_PGM_RSRC2:TGID_X_EN: 1
; COMPUTE_PGM_RSRC2:TGID_Y_EN: 0
; COMPUTE_PGM_RSRC2:TGID_Z_EN: 0
; COMPUTE_PGM_RSRC2:TIDIG_COMP_CNT: 0
	.section	.text._ZN9rocsparseL29bsrmmnt_small_blockdim_kernelILj64ELj16ELj2EllaaiiEEv20rocsparse_direction_T3_S2_llNS_24const_host_device_scalarIT7_EEPKT2_PKS2_PKT4_PKT5_llS5_PT6_ll16rocsparse_order_21rocsparse_index_base_b,"axG",@progbits,_ZN9rocsparseL29bsrmmnt_small_blockdim_kernelILj64ELj16ELj2EllaaiiEEv20rocsparse_direction_T3_S2_llNS_24const_host_device_scalarIT7_EEPKT2_PKS2_PKT4_PKT5_llS5_PT6_ll16rocsparse_order_21rocsparse_index_base_b,comdat
	.globl	_ZN9rocsparseL29bsrmmnt_small_blockdim_kernelILj64ELj16ELj2EllaaiiEEv20rocsparse_direction_T3_S2_llNS_24const_host_device_scalarIT7_EEPKT2_PKS2_PKT4_PKT5_llS5_PT6_ll16rocsparse_order_21rocsparse_index_base_b ; -- Begin function _ZN9rocsparseL29bsrmmnt_small_blockdim_kernelILj64ELj16ELj2EllaaiiEEv20rocsparse_direction_T3_S2_llNS_24const_host_device_scalarIT7_EEPKT2_PKS2_PKT4_PKT5_llS5_PT6_ll16rocsparse_order_21rocsparse_index_base_b
	.p2align	8
	.type	_ZN9rocsparseL29bsrmmnt_small_blockdim_kernelILj64ELj16ELj2EllaaiiEEv20rocsparse_direction_T3_S2_llNS_24const_host_device_scalarIT7_EEPKT2_PKS2_PKT4_PKT5_llS5_PT6_ll16rocsparse_order_21rocsparse_index_base_b,@function
_ZN9rocsparseL29bsrmmnt_small_blockdim_kernelILj64ELj16ELj2EllaaiiEEv20rocsparse_direction_T3_S2_llNS_24const_host_device_scalarIT7_EEPKT2_PKS2_PKT4_PKT5_llS5_PT6_ll16rocsparse_order_21rocsparse_index_base_b: ; @_ZN9rocsparseL29bsrmmnt_small_blockdim_kernelILj64ELj16ELj2EllaaiiEEv20rocsparse_direction_T3_S2_llNS_24const_host_device_scalarIT7_EEPKT2_PKS2_PKT4_PKT5_llS5_PT6_ll16rocsparse_order_21rocsparse_index_base_b
; %bb.0:
	s_clause 0x1
	s_load_b128 s[20:23], s[0:1], 0x80
	s_load_b64 s[4:5], s[0:1], 0x28
	s_mov_b32 s7, -1
	s_waitcnt lgkmcnt(0)
	s_bitcmp1_b32 s22, 0
                                        ; implicit-def: $sgpr22
	s_cselect_b32 s2, -1, 0
	s_delay_alu instid0(SALU_CYCLE_1) | instskip(NEXT) | instid1(SALU_CYCLE_1)
	s_xor_b32 s6, s2, -1
	s_and_b32 vcc_lo, exec_lo, s6
	s_cbranch_vccnz .LBB90_4
; %bb.1:
	s_load_b64 s[2:3], s[0:1], 0x60
	s_and_not1_b32 vcc_lo, exec_lo, s7
	s_cbranch_vccz .LBB90_5
.LBB90_2:
	s_and_b32 vcc_lo, exec_lo, s6
	s_cbranch_vccz .LBB90_6
.LBB90_3:
	s_waitcnt lgkmcnt(0)
	s_load_b32 s3, s[2:3], 0x0
	s_cbranch_execz .LBB90_7
	s_branch .LBB90_8
.LBB90_4:
	s_load_b32 s22, s[4:5], 0x0
	s_load_b64 s[2:3], s[0:1], 0x60
	s_cbranch_execnz .LBB90_2
.LBB90_5:
	s_waitcnt lgkmcnt(0)
	s_mov_b32 s22, s4
	s_and_b32 vcc_lo, exec_lo, s6
	s_cbranch_vccnz .LBB90_3
.LBB90_6:
                                        ; implicit-def: $sgpr3
.LBB90_7:
	s_waitcnt lgkmcnt(0)
	s_mov_b32 s3, s2
.LBB90_8:
	s_waitcnt lgkmcnt(0)
	s_cmp_eq_u32 s22, 0
	s_cselect_b32 s2, -1, 0
	s_cmp_eq_u32 s3, 1
	s_cselect_b32 s4, -1, 0
	s_delay_alu instid0(SALU_CYCLE_1) | instskip(NEXT) | instid1(SALU_CYCLE_1)
	s_and_b32 s2, s2, s4
	s_and_b32 vcc_lo, exec_lo, s2
	s_cbranch_vccnz .LBB90_34
; %bb.9:
	s_clause 0x1
	s_load_b32 s2, s[0:1], 0x9c
	s_load_b128 s[16:19], s[0:1], 0x8
	v_mov_b32_e32 v3, 0
	s_waitcnt lgkmcnt(0)
	s_and_b32 s2, s2, 0xffff
	s_delay_alu instid0(SALU_CYCLE_1) | instskip(SKIP_1) | instid1(VALU_DEP_1)
	v_mad_u64_u32 v[1:2], null, s15, s2, v[0:1]
	s_mov_b32 s2, exec_lo
	v_lshrrev_b32_e32 v2, 5, v1
	s_delay_alu instid0(VALU_DEP_1)
	v_cmpx_gt_i64_e64 s[16:17], v[2:3]
	s_cbranch_execz .LBB90_34
; %bb.10:
	v_cmp_lt_i64_e64 s2, s[18:19], 1
	s_delay_alu instid0(VALU_DEP_1)
	s_and_b32 vcc_lo, exec_lo, s2
	s_cbranch_vccnz .LBB90_34
; %bb.11:
	s_load_b256 s[4:11], s[0:1], 0x30
	v_dual_mov_b32 v5, 0 :: v_dual_lshlrev_b32 v2, 3, v2
	s_load_b128 s[12:15], s[0:1], 0x68
	v_lshrrev_b32_e32 v12, 4, v1
	v_bfe_u32 v4, v1, 4, 1
	v_lshrrev_b32_e32 v1, 4, v0
	s_cmp_lg_u32 s3, 0
	s_mov_b32 s16, s21
	s_cselect_b32 s17, -1, 0
	s_cmp_lg_u32 s20, 1
	v_lshlrev_b32_e32 v17, 7, v1
	s_cselect_b32 s20, -1, 0
	s_waitcnt lgkmcnt(0)
	global_load_b128 v[6:9], v2, s[4:5]
	s_clause 0x1
	s_load_b64 s[4:5], s[0:1], 0x50
	s_load_b32 s0, s[0:1], 0x0
	v_mad_u64_u32 v[2:3], null, v12, s14, 0
	s_delay_alu instid0(VALU_DEP_1) | instskip(SKIP_2) | instid1(VALU_DEP_3)
	v_mad_u64_u32 v[10:11], null, v12, s15, v[3:4]
	v_and_b32_e32 v16, 15, v0
	v_mul_u32_u24_e32 v0, 48, v1
	v_mov_b32_e32 v3, v10
	s_delay_alu instid0(VALU_DEP_2)
	v_or_b32_e32 v18, 0x200, v0
	v_lshlrev_b32_e32 v10, 2, v12
	s_waitcnt lgkmcnt(0)
	s_cmp_eq_u32 s0, 0
	v_lshl_or_b32 v19, v16, 3, v17
	v_lshlrev_b64 v[2:3], 2, v[2:3]
	s_cselect_b32 s1, -1, 0
	v_add_co_u32 v23, s2, s12, v10
	v_cndmask_b32_e64 v0, 0, 1, s1
	v_mad_u32_u24 v20, v16, 3, v18
	s_delay_alu instid0(VALU_DEP_4) | instskip(SKIP_1) | instid1(VALU_DEP_4)
	v_add_co_u32 v21, vcc_lo, s12, v2
	v_add_co_ci_u32_e32 v22, vcc_lo, s13, v3, vcc_lo
	v_lshlrev_b64 v[0:1], v0, v[4:5]
	v_add_co_ci_u32_e64 v24, null, s13, 0, s2
	s_and_b32 s1, s1, exec_lo
	s_mov_b64 s[12:13], 0
	s_waitcnt vmcnt(0)
	v_sub_co_u32 v2, vcc_lo, v6, s21
	v_subrev_co_ci_u32_e32 v3, vcc_lo, 0, v7, vcc_lo
	v_sub_co_u32 v4, vcc_lo, v8, s21
	v_cmp_lt_i64_e64 s0, v[6:7], v[8:9]
	v_subrev_co_ci_u32_e32 v5, vcc_lo, 0, v9, vcc_lo
	s_cselect_b32 s21, 1, 2
	s_branch .LBB90_13
.LBB90_12:                              ;   in Loop: Header=BB90_13 Depth=1
	s_or_b32 exec_lo, exec_lo, s1
	s_add_u32 s12, s12, 16
	s_addc_u32 s13, s13, 0
	s_delay_alu instid0(SALU_CYCLE_1) | instskip(NEXT) | instid1(VALU_DEP_1)
	v_cmp_lt_i64_e64 s1, s[12:13], s[18:19]
	s_and_b32 vcc_lo, exec_lo, s1
	s_cbranch_vccz .LBB90_34
.LBB90_13:                              ; =>This Loop Header: Depth=1
                                        ;     Child Loop BB90_16 Depth 2
                                        ;       Child Loop BB90_20 Depth 3
	v_or_b32_e64 v7, s13, 0
	v_or_b32_e32 v6, s12, v16
	v_mov_b32_e32 v25, 0
	s_and_saveexec_b32 s23, s0
	s_cbranch_execz .LBB90_22
; %bb.14:                               ;   in Loop: Header=BB90_13 Depth=1
	s_delay_alu instid0(VALU_DEP_2)
	v_add_co_u32 v8, s1, s10, v6
	v_cmp_gt_i64_e32 vcc_lo, s[18:19], v[6:7]
	v_mov_b32_e32 v11, v3
	v_add_co_ci_u32_e64 v9, s1, s11, v7, s1
	v_dual_mov_b32 v25, 0 :: v_dual_mov_b32 v10, v2
	s_mov_b32 s24, 0
	s_branch .LBB90_16
.LBB90_15:                              ;   in Loop: Header=BB90_16 Depth=2
	s_or_b32 exec_lo, exec_lo, s25
	v_add_co_u32 v10, s1, v10, 16
	s_delay_alu instid0(VALU_DEP_1) | instskip(NEXT) | instid1(VALU_DEP_1)
	v_add_co_ci_u32_e64 v11, s1, 0, v11, s1
	v_cmp_ge_i64_e64 s1, v[10:11], v[4:5]
	s_delay_alu instid0(VALU_DEP_1) | instskip(NEXT) | instid1(SALU_CYCLE_1)
	s_or_b32 s24, s1, s24
	s_and_not1_b32 exec_lo, exec_lo, s24
	s_cbranch_execz .LBB90_21
.LBB90_16:                              ;   Parent Loop BB90_13 Depth=1
                                        ; =>  This Loop Header: Depth=2
                                        ;       Child Loop BB90_20 Depth 3
	s_delay_alu instid0(VALU_DEP_1) | instskip(SKIP_4) | instid1(VALU_DEP_2)
	v_add_co_u32 v12, s1, v10, v16
	v_dual_mov_b32 v14, 0 :: v_dual_mov_b32 v27, 0
	v_add_co_ci_u32_e64 v13, s1, 0, v11, s1
	v_dual_mov_b32 v15, 0 :: v_dual_mov_b32 v26, 0
	s_mov_b32 s2, exec_lo
	v_cmpx_lt_i64_e64 v[12:13], v[4:5]
	s_cbranch_execz .LBB90_18
; %bb.17:                               ;   in Loop: Header=BB90_16 Depth=2
	v_lshlrev_b64 v[14:15], 3, v[12:13]
	v_lshlrev_b64 v[12:13], 2, v[12:13]
	s_delay_alu instid0(VALU_DEP_2) | instskip(NEXT) | instid1(VALU_DEP_1)
	v_add_co_u32 v14, s1, s6, v14
	v_add_co_ci_u32_e64 v15, s1, s7, v15, s1
	s_delay_alu instid0(VALU_DEP_3) | instskip(NEXT) | instid1(VALU_DEP_4)
	v_or_b32_e32 v27, v12, v0
	v_or_b32_e32 v26, v13, v1
	global_load_b64 v[12:13], v[14:15], off
	v_or_b32_e32 v29, s21, v27
	v_or_b32_e32 v28, 0, v26
	v_add_co_u32 v14, s1, s8, v27
	s_delay_alu instid0(VALU_DEP_1) | instskip(NEXT) | instid1(VALU_DEP_4)
	v_add_co_ci_u32_e64 v15, s1, s9, v26, s1
	v_add_co_u32 v27, s1, s8, v29
	s_delay_alu instid0(VALU_DEP_1)
	v_add_co_ci_u32_e64 v28, s1, s9, v28, s1
	s_clause 0x1
	global_load_u8 v26, v[14:15], off
	global_load_u8 v27, v[27:28], off
	s_waitcnt vmcnt(2)
	v_sub_co_u32 v12, s1, v12, s16
	s_delay_alu instid0(VALU_DEP_1) | instskip(NEXT) | instid1(VALU_DEP_1)
	v_subrev_co_ci_u32_e64 v13, s1, 0, v13, s1
	v_lshlrev_b64 v[14:15], 1, v[12:13]
.LBB90_18:                              ;   in Loop: Header=BB90_16 Depth=2
	s_or_b32 exec_lo, exec_lo, s2
	ds_store_b64 v19, v[14:15]
	s_waitcnt vmcnt(1)
	ds_store_b8 v20, v26
	s_waitcnt vmcnt(0)
	ds_store_b8 v20, v27 offset:1
	s_waitcnt lgkmcnt(0)
	s_waitcnt_vscnt null, 0x0
	s_barrier
	buffer_gl0_inv
	s_and_saveexec_b32 s25, vcc_lo
	s_cbranch_execz .LBB90_15
; %bb.19:                               ;   in Loop: Header=BB90_16 Depth=2
	v_mov_b32_e32 v12, v17
	s_mov_b32 s26, 0
.LBB90_20:                              ;   Parent Loop BB90_13 Depth=1
                                        ;     Parent Loop BB90_16 Depth=2
                                        ; =>    This Inner Loop Header: Depth=3
	ds_load_b128 v[26:29], v12
	v_add_nc_u32_e32 v12, 16, v12
	s_waitcnt lgkmcnt(0)
	v_mad_u64_u32 v[13:14], null, v26, s4, v[8:9]
	v_mul_lo_u32 v15, v26, s5
	v_mul_lo_u32 v30, v27, s4
	v_mad_u64_u32 v[26:27], null, v28, s4, v[8:9]
	v_mul_lo_u32 v28, v28, s5
	v_mul_lo_u32 v29, v29, s4
	s_delay_alu instid0(VALU_DEP_4) | instskip(SKIP_1) | instid1(VALU_DEP_3)
	v_add3_u32 v14, v30, v14, v15
	v_add_co_u32 v30, s2, v13, s4
	v_add3_u32 v27, v29, v27, v28
	v_add_co_u32 v28, s1, v26, s4
	s_delay_alu instid0(VALU_DEP_4) | instskip(NEXT) | instid1(VALU_DEP_3)
	v_add_co_ci_u32_e64 v31, s2, s5, v14, s2
	v_add_co_ci_u32_e64 v29, s1, s5, v27, s1
	s_clause 0x3
	global_load_i8 v13, v[13:14], off
	global_load_i8 v14, v[26:27], off
	;; [unrolled: 1-line block ×4, first 2 shown]
	v_add_nc_u32_e32 v27, s26, v18
	ds_load_u16 v28, v27
	ds_load_i8 v29, v27 offset:3
	ds_load_i8 v27, v27 offset:4
	s_add_i32 s26, s26, 6
	s_delay_alu instid0(SALU_CYCLE_1)
	s_cmp_lg_u32 s26, 48
	s_waitcnt lgkmcnt(2)
	v_perm_b32 v28, v28, v28, 0xc0c0100
	s_waitcnt lgkmcnt(0)
	v_perm_b32 v27, v27, v29, 0x4000c0c
	s_waitcnt vmcnt(1)
	v_perm_b32 v13, v15, v13, 0xc0c0400
	s_waitcnt vmcnt(0)
	v_perm_b32 v14, v26, v14, 0x4000c0c
	v_or_b32_e32 v15, v27, v28
	s_delay_alu instid0(VALU_DEP_2) | instskip(NEXT) | instid1(VALU_DEP_1)
	v_or_b32_e32 v13, v14, v13
	v_dot4_i32_iu8 v25, v15, v13, v25 neg_lo:[1,1,0]
	s_cbranch_scc1 .LBB90_20
	s_branch .LBB90_15
.LBB90_21:                              ;   in Loop: Header=BB90_13 Depth=1
	s_or_b32 exec_lo, exec_lo, s24
.LBB90_22:                              ;   in Loop: Header=BB90_13 Depth=1
	s_delay_alu instid0(SALU_CYCLE_1) | instskip(NEXT) | instid1(SALU_CYCLE_1)
	s_or_b32 exec_lo, exec_lo, s23
	s_mov_b32 s1, exec_lo
	v_cmpx_gt_i64_e64 s[18:19], v[6:7]
	s_cbranch_execz .LBB90_12
; %bb.23:                               ;   in Loop: Header=BB90_13 Depth=1
	s_and_b32 vcc_lo, exec_lo, s17
	s_cbranch_vccz .LBB90_29
; %bb.24:                               ;   in Loop: Header=BB90_13 Depth=1
	s_and_b32 vcc_lo, exec_lo, s20
	s_mov_b32 s2, -1
	s_cbranch_vccz .LBB90_26
; %bb.25:                               ;   in Loop: Header=BB90_13 Depth=1
	v_lshlrev_b64 v[8:9], 2, v[6:7]
	v_mul_lo_u32 v10, v25, s22
	s_mov_b32 s2, 0
	s_delay_alu instid0(VALU_DEP_2) | instskip(NEXT) | instid1(VALU_DEP_3)
	v_add_co_u32 v8, vcc_lo, v21, v8
	v_add_co_ci_u32_e32 v9, vcc_lo, v22, v9, vcc_lo
	global_load_b32 v13, v[8:9], off
	s_waitcnt vmcnt(0)
	v_mad_u64_u32 v[11:12], null, v13, s3, v[10:11]
	global_store_b32 v[8:9], v11, off
.LBB90_26:                              ;   in Loop: Header=BB90_13 Depth=1
	s_and_not1_b32 vcc_lo, exec_lo, s2
	s_cbranch_vccnz .LBB90_28
; %bb.27:                               ;   in Loop: Header=BB90_13 Depth=1
	v_mul_lo_u32 v10, v7, s14
	v_mul_lo_u32 v11, v6, s15
	v_mad_u64_u32 v[8:9], null, v6, s14, 0
	s_delay_alu instid0(VALU_DEP_1) | instskip(SKIP_1) | instid1(VALU_DEP_2)
	v_add3_u32 v9, v9, v11, v10
	v_mul_lo_u32 v10, v25, s22
	v_lshlrev_b64 v[8:9], 2, v[8:9]
	s_delay_alu instid0(VALU_DEP_1) | instskip(NEXT) | instid1(VALU_DEP_2)
	v_add_co_u32 v8, vcc_lo, v23, v8
	v_add_co_ci_u32_e32 v9, vcc_lo, v24, v9, vcc_lo
	global_load_b32 v13, v[8:9], off
	s_waitcnt vmcnt(0)
	v_mad_u64_u32 v[11:12], null, v13, s3, v[10:11]
	global_store_b32 v[8:9], v11, off
.LBB90_28:                              ;   in Loop: Header=BB90_13 Depth=1
	s_cbranch_execnz .LBB90_12
	s_branch .LBB90_30
.LBB90_29:                              ;   in Loop: Header=BB90_13 Depth=1
.LBB90_30:                              ;   in Loop: Header=BB90_13 Depth=1
	v_mul_lo_u32 v8, v25, s22
	s_and_b32 vcc_lo, exec_lo, s20
	s_mov_b32 s2, -1
	s_cbranch_vccz .LBB90_32
; %bb.31:                               ;   in Loop: Header=BB90_13 Depth=1
	v_lshlrev_b64 v[9:10], 2, v[6:7]
	s_mov_b32 s2, 0
	s_delay_alu instid0(VALU_DEP_1) | instskip(NEXT) | instid1(VALU_DEP_2)
	v_add_co_u32 v9, vcc_lo, v21, v9
	v_add_co_ci_u32_e32 v10, vcc_lo, v22, v10, vcc_lo
	global_store_b32 v[9:10], v8, off
.LBB90_32:                              ;   in Loop: Header=BB90_13 Depth=1
	s_and_not1_b32 vcc_lo, exec_lo, s2
	s_cbranch_vccnz .LBB90_12
; %bb.33:                               ;   in Loop: Header=BB90_13 Depth=1
	v_mul_lo_u32 v7, v7, s14
	v_mul_lo_u32 v11, v6, s15
	v_mad_u64_u32 v[9:10], null, v6, s14, 0
	s_delay_alu instid0(VALU_DEP_1) | instskip(NEXT) | instid1(VALU_DEP_1)
	v_add3_u32 v10, v10, v11, v7
	v_lshlrev_b64 v[6:7], 2, v[9:10]
	s_delay_alu instid0(VALU_DEP_1) | instskip(NEXT) | instid1(VALU_DEP_2)
	v_add_co_u32 v6, vcc_lo, v23, v6
	v_add_co_ci_u32_e32 v7, vcc_lo, v24, v7, vcc_lo
	global_store_b32 v[6:7], v8, off
	s_branch .LBB90_12
.LBB90_34:
	s_nop 0
	s_sendmsg sendmsg(MSG_DEALLOC_VGPRS)
	s_endpgm
	.section	.rodata,"a",@progbits
	.p2align	6, 0x0
	.amdhsa_kernel _ZN9rocsparseL29bsrmmnt_small_blockdim_kernelILj64ELj16ELj2EllaaiiEEv20rocsparse_direction_T3_S2_llNS_24const_host_device_scalarIT7_EEPKT2_PKS2_PKT4_PKT5_llS5_PT6_ll16rocsparse_order_21rocsparse_index_base_b
		.amdhsa_group_segment_fixed_size 704
		.amdhsa_private_segment_fixed_size 0
		.amdhsa_kernarg_size 400
		.amdhsa_user_sgpr_count 15
		.amdhsa_user_sgpr_dispatch_ptr 0
		.amdhsa_user_sgpr_queue_ptr 0
		.amdhsa_user_sgpr_kernarg_segment_ptr 1
		.amdhsa_user_sgpr_dispatch_id 0
		.amdhsa_user_sgpr_private_segment_size 0
		.amdhsa_wavefront_size32 1
		.amdhsa_uses_dynamic_stack 0
		.amdhsa_enable_private_segment 0
		.amdhsa_system_sgpr_workgroup_id_x 1
		.amdhsa_system_sgpr_workgroup_id_y 0
		.amdhsa_system_sgpr_workgroup_id_z 0
		.amdhsa_system_sgpr_workgroup_info 0
		.amdhsa_system_vgpr_workitem_id 0
		.amdhsa_next_free_vgpr 32
		.amdhsa_next_free_sgpr 27
		.amdhsa_reserve_vcc 1
		.amdhsa_float_round_mode_32 0
		.amdhsa_float_round_mode_16_64 0
		.amdhsa_float_denorm_mode_32 3
		.amdhsa_float_denorm_mode_16_64 3
		.amdhsa_dx10_clamp 1
		.amdhsa_ieee_mode 1
		.amdhsa_fp16_overflow 0
		.amdhsa_workgroup_processor_mode 1
		.amdhsa_memory_ordered 1
		.amdhsa_forward_progress 0
		.amdhsa_shared_vgpr_count 0
		.amdhsa_exception_fp_ieee_invalid_op 0
		.amdhsa_exception_fp_denorm_src 0
		.amdhsa_exception_fp_ieee_div_zero 0
		.amdhsa_exception_fp_ieee_overflow 0
		.amdhsa_exception_fp_ieee_underflow 0
		.amdhsa_exception_fp_ieee_inexact 0
		.amdhsa_exception_int_div_zero 0
	.end_amdhsa_kernel
	.section	.text._ZN9rocsparseL29bsrmmnt_small_blockdim_kernelILj64ELj16ELj2EllaaiiEEv20rocsparse_direction_T3_S2_llNS_24const_host_device_scalarIT7_EEPKT2_PKS2_PKT4_PKT5_llS5_PT6_ll16rocsparse_order_21rocsparse_index_base_b,"axG",@progbits,_ZN9rocsparseL29bsrmmnt_small_blockdim_kernelILj64ELj16ELj2EllaaiiEEv20rocsparse_direction_T3_S2_llNS_24const_host_device_scalarIT7_EEPKT2_PKS2_PKT4_PKT5_llS5_PT6_ll16rocsparse_order_21rocsparse_index_base_b,comdat
.Lfunc_end90:
	.size	_ZN9rocsparseL29bsrmmnt_small_blockdim_kernelILj64ELj16ELj2EllaaiiEEv20rocsparse_direction_T3_S2_llNS_24const_host_device_scalarIT7_EEPKT2_PKS2_PKT4_PKT5_llS5_PT6_ll16rocsparse_order_21rocsparse_index_base_b, .Lfunc_end90-_ZN9rocsparseL29bsrmmnt_small_blockdim_kernelILj64ELj16ELj2EllaaiiEEv20rocsparse_direction_T3_S2_llNS_24const_host_device_scalarIT7_EEPKT2_PKS2_PKT4_PKT5_llS5_PT6_ll16rocsparse_order_21rocsparse_index_base_b
                                        ; -- End function
	.section	.AMDGPU.csdata,"",@progbits
; Kernel info:
; codeLenInByte = 1636
; NumSgprs: 29
; NumVgprs: 32
; ScratchSize: 0
; MemoryBound: 0
; FloatMode: 240
; IeeeMode: 1
; LDSByteSize: 704 bytes/workgroup (compile time only)
; SGPRBlocks: 3
; VGPRBlocks: 3
; NumSGPRsForWavesPerEU: 29
; NumVGPRsForWavesPerEU: 32
; Occupancy: 16
; WaveLimiterHint : 1
; COMPUTE_PGM_RSRC2:SCRATCH_EN: 0
; COMPUTE_PGM_RSRC2:USER_SGPR: 15
; COMPUTE_PGM_RSRC2:TRAP_HANDLER: 0
; COMPUTE_PGM_RSRC2:TGID_X_EN: 1
; COMPUTE_PGM_RSRC2:TGID_Y_EN: 0
; COMPUTE_PGM_RSRC2:TGID_Z_EN: 0
; COMPUTE_PGM_RSRC2:TIDIG_COMP_CNT: 0
	.section	.text._ZN9rocsparseL29bsrmmnt_small_blockdim_kernelILj64ELj32ELj2EllaaiiEEv20rocsparse_direction_T3_S2_llNS_24const_host_device_scalarIT7_EEPKT2_PKS2_PKT4_PKT5_llS5_PT6_ll16rocsparse_order_21rocsparse_index_base_b,"axG",@progbits,_ZN9rocsparseL29bsrmmnt_small_blockdim_kernelILj64ELj32ELj2EllaaiiEEv20rocsparse_direction_T3_S2_llNS_24const_host_device_scalarIT7_EEPKT2_PKS2_PKT4_PKT5_llS5_PT6_ll16rocsparse_order_21rocsparse_index_base_b,comdat
	.globl	_ZN9rocsparseL29bsrmmnt_small_blockdim_kernelILj64ELj32ELj2EllaaiiEEv20rocsparse_direction_T3_S2_llNS_24const_host_device_scalarIT7_EEPKT2_PKS2_PKT4_PKT5_llS5_PT6_ll16rocsparse_order_21rocsparse_index_base_b ; -- Begin function _ZN9rocsparseL29bsrmmnt_small_blockdim_kernelILj64ELj32ELj2EllaaiiEEv20rocsparse_direction_T3_S2_llNS_24const_host_device_scalarIT7_EEPKT2_PKS2_PKT4_PKT5_llS5_PT6_ll16rocsparse_order_21rocsparse_index_base_b
	.p2align	8
	.type	_ZN9rocsparseL29bsrmmnt_small_blockdim_kernelILj64ELj32ELj2EllaaiiEEv20rocsparse_direction_T3_S2_llNS_24const_host_device_scalarIT7_EEPKT2_PKS2_PKT4_PKT5_llS5_PT6_ll16rocsparse_order_21rocsparse_index_base_b,@function
_ZN9rocsparseL29bsrmmnt_small_blockdim_kernelILj64ELj32ELj2EllaaiiEEv20rocsparse_direction_T3_S2_llNS_24const_host_device_scalarIT7_EEPKT2_PKS2_PKT4_PKT5_llS5_PT6_ll16rocsparse_order_21rocsparse_index_base_b: ; @_ZN9rocsparseL29bsrmmnt_small_blockdim_kernelILj64ELj32ELj2EllaaiiEEv20rocsparse_direction_T3_S2_llNS_24const_host_device_scalarIT7_EEPKT2_PKS2_PKT4_PKT5_llS5_PT6_ll16rocsparse_order_21rocsparse_index_base_b
; %bb.0:
	s_clause 0x1
	s_load_b128 s[20:23], s[0:1], 0x80
	s_load_b64 s[4:5], s[0:1], 0x28
	s_mov_b32 s7, -1
	s_waitcnt lgkmcnt(0)
	s_bitcmp1_b32 s22, 0
                                        ; implicit-def: $sgpr22
	s_cselect_b32 s2, -1, 0
	s_delay_alu instid0(SALU_CYCLE_1) | instskip(NEXT) | instid1(SALU_CYCLE_1)
	s_xor_b32 s6, s2, -1
	s_and_b32 vcc_lo, exec_lo, s6
	s_cbranch_vccnz .LBB91_4
; %bb.1:
	s_load_b64 s[2:3], s[0:1], 0x60
	s_and_not1_b32 vcc_lo, exec_lo, s7
	s_cbranch_vccz .LBB91_5
.LBB91_2:
	s_and_b32 vcc_lo, exec_lo, s6
	s_cbranch_vccz .LBB91_6
.LBB91_3:
	s_waitcnt lgkmcnt(0)
	s_load_b32 s3, s[2:3], 0x0
	s_cbranch_execz .LBB91_7
	s_branch .LBB91_8
.LBB91_4:
	s_load_b32 s22, s[4:5], 0x0
	s_load_b64 s[2:3], s[0:1], 0x60
	s_cbranch_execnz .LBB91_2
.LBB91_5:
	s_waitcnt lgkmcnt(0)
	s_mov_b32 s22, s4
	s_and_b32 vcc_lo, exec_lo, s6
	s_cbranch_vccnz .LBB91_3
.LBB91_6:
                                        ; implicit-def: $sgpr3
.LBB91_7:
	s_waitcnt lgkmcnt(0)
	s_mov_b32 s3, s2
.LBB91_8:
	s_waitcnt lgkmcnt(0)
	s_cmp_eq_u32 s22, 0
	s_cselect_b32 s2, -1, 0
	s_cmp_eq_u32 s3, 1
	s_cselect_b32 s4, -1, 0
	s_delay_alu instid0(SALU_CYCLE_1) | instskip(NEXT) | instid1(SALU_CYCLE_1)
	s_and_b32 s2, s2, s4
	s_and_b32 vcc_lo, exec_lo, s2
	s_cbranch_vccnz .LBB91_34
; %bb.9:
	s_clause 0x1
	s_load_b32 s2, s[0:1], 0x9c
	s_load_b128 s[16:19], s[0:1], 0x8
	v_mov_b32_e32 v3, 0
	s_waitcnt lgkmcnt(0)
	s_and_b32 s2, s2, 0xffff
	s_delay_alu instid0(SALU_CYCLE_1) | instskip(SKIP_1) | instid1(VALU_DEP_1)
	v_mad_u64_u32 v[1:2], null, s15, s2, v[0:1]
	s_mov_b32 s2, exec_lo
	v_lshrrev_b32_e32 v2, 6, v1
	s_delay_alu instid0(VALU_DEP_1)
	v_cmpx_gt_i64_e64 s[16:17], v[2:3]
	s_cbranch_execz .LBB91_34
; %bb.10:
	v_cmp_lt_i64_e64 s2, s[18:19], 1
	s_delay_alu instid0(VALU_DEP_1)
	s_and_b32 vcc_lo, exec_lo, s2
	s_cbranch_vccnz .LBB91_34
; %bb.11:
	s_load_b256 s[4:11], s[0:1], 0x30
	v_dual_mov_b32 v5, 0 :: v_dual_lshlrev_b32 v2, 3, v2
	s_load_b128 s[12:15], s[0:1], 0x68
	v_lshrrev_b32_e32 v12, 5, v1
	v_bfe_u32 v4, v1, 5, 1
	v_lshrrev_b32_e32 v1, 5, v0
	s_cmp_lg_u32 s3, 0
	s_mov_b32 s16, s21
	s_cselect_b32 s17, -1, 0
	s_cmp_lg_u32 s20, 1
	v_lshlrev_b32_e32 v17, 8, v1
	s_cselect_b32 s20, -1, 0
	s_waitcnt lgkmcnt(0)
	global_load_b128 v[6:9], v2, s[4:5]
	s_clause 0x1
	s_load_b64 s[4:5], s[0:1], 0x50
	s_load_b32 s0, s[0:1], 0x0
	v_mad_u64_u32 v[2:3], null, v12, s14, 0
	s_delay_alu instid0(VALU_DEP_1) | instskip(SKIP_2) | instid1(VALU_DEP_3)
	v_mad_u64_u32 v[10:11], null, v12, s15, v[3:4]
	v_and_b32_e32 v16, 31, v0
	v_mul_u32_u24_e32 v0, 0x60, v1
	v_mov_b32_e32 v3, v10
	s_delay_alu instid0(VALU_DEP_2)
	v_or_b32_e32 v18, 0x200, v0
	v_lshlrev_b32_e32 v10, 2, v12
	s_waitcnt lgkmcnt(0)
	s_cmp_eq_u32 s0, 0
	v_lshl_or_b32 v19, v16, 3, v17
	v_lshlrev_b64 v[2:3], 2, v[2:3]
	s_cselect_b32 s1, -1, 0
	v_add_co_u32 v23, s2, s12, v10
	v_cndmask_b32_e64 v0, 0, 1, s1
	v_mad_u32_u24 v20, v16, 3, v18
	s_delay_alu instid0(VALU_DEP_4) | instskip(SKIP_1) | instid1(VALU_DEP_4)
	v_add_co_u32 v21, vcc_lo, s12, v2
	v_add_co_ci_u32_e32 v22, vcc_lo, s13, v3, vcc_lo
	v_lshlrev_b64 v[0:1], v0, v[4:5]
	v_add_co_ci_u32_e64 v24, null, s13, 0, s2
	s_and_b32 s1, s1, exec_lo
	s_mov_b64 s[12:13], 0
	s_waitcnt vmcnt(0)
	v_sub_co_u32 v2, vcc_lo, v6, s21
	v_subrev_co_ci_u32_e32 v3, vcc_lo, 0, v7, vcc_lo
	v_sub_co_u32 v4, vcc_lo, v8, s21
	v_cmp_lt_i64_e64 s0, v[6:7], v[8:9]
	v_subrev_co_ci_u32_e32 v5, vcc_lo, 0, v9, vcc_lo
	s_cselect_b32 s21, 1, 2
	s_branch .LBB91_13
.LBB91_12:                              ;   in Loop: Header=BB91_13 Depth=1
	s_or_b32 exec_lo, exec_lo, s1
	s_add_u32 s12, s12, 32
	s_addc_u32 s13, s13, 0
	s_delay_alu instid0(SALU_CYCLE_1) | instskip(NEXT) | instid1(VALU_DEP_1)
	v_cmp_lt_i64_e64 s1, s[12:13], s[18:19]
	s_and_b32 vcc_lo, exec_lo, s1
	s_cbranch_vccz .LBB91_34
.LBB91_13:                              ; =>This Loop Header: Depth=1
                                        ;     Child Loop BB91_16 Depth 2
                                        ;       Child Loop BB91_20 Depth 3
	v_or_b32_e64 v7, s13, 0
	v_or_b32_e32 v6, s12, v16
	v_mov_b32_e32 v25, 0
	s_and_saveexec_b32 s23, s0
	s_cbranch_execz .LBB91_22
; %bb.14:                               ;   in Loop: Header=BB91_13 Depth=1
	s_delay_alu instid0(VALU_DEP_2)
	v_add_co_u32 v8, s1, s10, v6
	v_cmp_gt_i64_e32 vcc_lo, s[18:19], v[6:7]
	v_mov_b32_e32 v11, v3
	v_add_co_ci_u32_e64 v9, s1, s11, v7, s1
	v_dual_mov_b32 v25, 0 :: v_dual_mov_b32 v10, v2
	s_mov_b32 s24, 0
	s_branch .LBB91_16
.LBB91_15:                              ;   in Loop: Header=BB91_16 Depth=2
	s_or_b32 exec_lo, exec_lo, s25
	v_add_co_u32 v10, s1, v10, 32
	s_delay_alu instid0(VALU_DEP_1) | instskip(NEXT) | instid1(VALU_DEP_1)
	v_add_co_ci_u32_e64 v11, s1, 0, v11, s1
	v_cmp_ge_i64_e64 s1, v[10:11], v[4:5]
	s_delay_alu instid0(VALU_DEP_1) | instskip(NEXT) | instid1(SALU_CYCLE_1)
	s_or_b32 s24, s1, s24
	s_and_not1_b32 exec_lo, exec_lo, s24
	s_cbranch_execz .LBB91_21
.LBB91_16:                              ;   Parent Loop BB91_13 Depth=1
                                        ; =>  This Loop Header: Depth=2
                                        ;       Child Loop BB91_20 Depth 3
	s_delay_alu instid0(VALU_DEP_1) | instskip(SKIP_4) | instid1(VALU_DEP_2)
	v_add_co_u32 v12, s1, v10, v16
	v_dual_mov_b32 v14, 0 :: v_dual_mov_b32 v27, 0
	v_add_co_ci_u32_e64 v13, s1, 0, v11, s1
	v_dual_mov_b32 v15, 0 :: v_dual_mov_b32 v26, 0
	s_mov_b32 s2, exec_lo
	v_cmpx_lt_i64_e64 v[12:13], v[4:5]
	s_cbranch_execz .LBB91_18
; %bb.17:                               ;   in Loop: Header=BB91_16 Depth=2
	v_lshlrev_b64 v[14:15], 3, v[12:13]
	v_lshlrev_b64 v[12:13], 2, v[12:13]
	s_delay_alu instid0(VALU_DEP_2) | instskip(NEXT) | instid1(VALU_DEP_1)
	v_add_co_u32 v14, s1, s6, v14
	v_add_co_ci_u32_e64 v15, s1, s7, v15, s1
	s_delay_alu instid0(VALU_DEP_3) | instskip(NEXT) | instid1(VALU_DEP_4)
	v_or_b32_e32 v27, v12, v0
	v_or_b32_e32 v26, v13, v1
	global_load_b64 v[12:13], v[14:15], off
	v_or_b32_e32 v29, s21, v27
	v_or_b32_e32 v28, 0, v26
	v_add_co_u32 v14, s1, s8, v27
	s_delay_alu instid0(VALU_DEP_1) | instskip(NEXT) | instid1(VALU_DEP_4)
	v_add_co_ci_u32_e64 v15, s1, s9, v26, s1
	v_add_co_u32 v27, s1, s8, v29
	s_delay_alu instid0(VALU_DEP_1)
	v_add_co_ci_u32_e64 v28, s1, s9, v28, s1
	s_clause 0x1
	global_load_u8 v26, v[14:15], off
	global_load_u8 v27, v[27:28], off
	s_waitcnt vmcnt(2)
	v_sub_co_u32 v12, s1, v12, s16
	s_delay_alu instid0(VALU_DEP_1) | instskip(NEXT) | instid1(VALU_DEP_1)
	v_subrev_co_ci_u32_e64 v13, s1, 0, v13, s1
	v_lshlrev_b64 v[14:15], 1, v[12:13]
.LBB91_18:                              ;   in Loop: Header=BB91_16 Depth=2
	s_or_b32 exec_lo, exec_lo, s2
	ds_store_b64 v19, v[14:15]
	s_waitcnt vmcnt(1)
	ds_store_b8 v20, v26
	s_waitcnt vmcnt(0)
	ds_store_b8 v20, v27 offset:1
	s_waitcnt lgkmcnt(0)
	s_waitcnt_vscnt null, 0x0
	s_barrier
	buffer_gl0_inv
	s_and_saveexec_b32 s25, vcc_lo
	s_cbranch_execz .LBB91_15
; %bb.19:                               ;   in Loop: Header=BB91_16 Depth=2
	v_mov_b32_e32 v12, v17
	s_mov_b32 s26, 0
.LBB91_20:                              ;   Parent Loop BB91_13 Depth=1
                                        ;     Parent Loop BB91_16 Depth=2
                                        ; =>    This Inner Loop Header: Depth=3
	ds_load_b128 v[26:29], v12
	v_add_nc_u32_e32 v12, 16, v12
	s_waitcnt lgkmcnt(0)
	v_mad_u64_u32 v[13:14], null, v26, s4, v[8:9]
	v_mul_lo_u32 v15, v26, s5
	v_mul_lo_u32 v30, v27, s4
	v_mad_u64_u32 v[26:27], null, v28, s4, v[8:9]
	v_mul_lo_u32 v28, v28, s5
	v_mul_lo_u32 v29, v29, s4
	s_delay_alu instid0(VALU_DEP_4) | instskip(SKIP_1) | instid1(VALU_DEP_3)
	v_add3_u32 v14, v30, v14, v15
	v_add_co_u32 v30, s2, v13, s4
	v_add3_u32 v27, v29, v27, v28
	v_add_co_u32 v28, s1, v26, s4
	s_delay_alu instid0(VALU_DEP_4) | instskip(NEXT) | instid1(VALU_DEP_3)
	v_add_co_ci_u32_e64 v31, s2, s5, v14, s2
	v_add_co_ci_u32_e64 v29, s1, s5, v27, s1
	s_clause 0x3
	global_load_i8 v13, v[13:14], off
	global_load_i8 v14, v[26:27], off
	;; [unrolled: 1-line block ×4, first 2 shown]
	v_add_nc_u32_e32 v27, s26, v18
	ds_load_u16 v28, v27
	ds_load_i8 v29, v27 offset:3
	ds_load_i8 v27, v27 offset:4
	s_add_i32 s26, s26, 6
	s_delay_alu instid0(SALU_CYCLE_1)
	s_cmpk_lg_i32 s26, 0x60
	s_waitcnt lgkmcnt(2)
	v_perm_b32 v28, v28, v28, 0xc0c0100
	s_waitcnt lgkmcnt(0)
	v_perm_b32 v27, v27, v29, 0x4000c0c
	s_waitcnt vmcnt(1)
	v_perm_b32 v13, v15, v13, 0xc0c0400
	s_waitcnt vmcnt(0)
	v_perm_b32 v14, v26, v14, 0x4000c0c
	v_or_b32_e32 v15, v27, v28
	s_delay_alu instid0(VALU_DEP_2) | instskip(NEXT) | instid1(VALU_DEP_1)
	v_or_b32_e32 v13, v14, v13
	v_dot4_i32_iu8 v25, v15, v13, v25 neg_lo:[1,1,0]
	s_cbranch_scc1 .LBB91_20
	s_branch .LBB91_15
.LBB91_21:                              ;   in Loop: Header=BB91_13 Depth=1
	s_or_b32 exec_lo, exec_lo, s24
.LBB91_22:                              ;   in Loop: Header=BB91_13 Depth=1
	s_delay_alu instid0(SALU_CYCLE_1) | instskip(NEXT) | instid1(SALU_CYCLE_1)
	s_or_b32 exec_lo, exec_lo, s23
	s_mov_b32 s1, exec_lo
	v_cmpx_gt_i64_e64 s[18:19], v[6:7]
	s_cbranch_execz .LBB91_12
; %bb.23:                               ;   in Loop: Header=BB91_13 Depth=1
	s_and_b32 vcc_lo, exec_lo, s17
	s_cbranch_vccz .LBB91_29
; %bb.24:                               ;   in Loop: Header=BB91_13 Depth=1
	s_and_b32 vcc_lo, exec_lo, s20
	s_mov_b32 s2, -1
	s_cbranch_vccz .LBB91_26
; %bb.25:                               ;   in Loop: Header=BB91_13 Depth=1
	v_lshlrev_b64 v[8:9], 2, v[6:7]
	v_mul_lo_u32 v10, v25, s22
	s_mov_b32 s2, 0
	s_delay_alu instid0(VALU_DEP_2) | instskip(NEXT) | instid1(VALU_DEP_3)
	v_add_co_u32 v8, vcc_lo, v21, v8
	v_add_co_ci_u32_e32 v9, vcc_lo, v22, v9, vcc_lo
	global_load_b32 v13, v[8:9], off
	s_waitcnt vmcnt(0)
	v_mad_u64_u32 v[11:12], null, v13, s3, v[10:11]
	global_store_b32 v[8:9], v11, off
.LBB91_26:                              ;   in Loop: Header=BB91_13 Depth=1
	s_and_not1_b32 vcc_lo, exec_lo, s2
	s_cbranch_vccnz .LBB91_28
; %bb.27:                               ;   in Loop: Header=BB91_13 Depth=1
	v_mul_lo_u32 v10, v7, s14
	v_mul_lo_u32 v11, v6, s15
	v_mad_u64_u32 v[8:9], null, v6, s14, 0
	s_delay_alu instid0(VALU_DEP_1) | instskip(SKIP_1) | instid1(VALU_DEP_2)
	v_add3_u32 v9, v9, v11, v10
	v_mul_lo_u32 v10, v25, s22
	v_lshlrev_b64 v[8:9], 2, v[8:9]
	s_delay_alu instid0(VALU_DEP_1) | instskip(NEXT) | instid1(VALU_DEP_2)
	v_add_co_u32 v8, vcc_lo, v23, v8
	v_add_co_ci_u32_e32 v9, vcc_lo, v24, v9, vcc_lo
	global_load_b32 v13, v[8:9], off
	s_waitcnt vmcnt(0)
	v_mad_u64_u32 v[11:12], null, v13, s3, v[10:11]
	global_store_b32 v[8:9], v11, off
.LBB91_28:                              ;   in Loop: Header=BB91_13 Depth=1
	s_cbranch_execnz .LBB91_12
	s_branch .LBB91_30
.LBB91_29:                              ;   in Loop: Header=BB91_13 Depth=1
.LBB91_30:                              ;   in Loop: Header=BB91_13 Depth=1
	v_mul_lo_u32 v8, v25, s22
	s_and_b32 vcc_lo, exec_lo, s20
	s_mov_b32 s2, -1
	s_cbranch_vccz .LBB91_32
; %bb.31:                               ;   in Loop: Header=BB91_13 Depth=1
	v_lshlrev_b64 v[9:10], 2, v[6:7]
	s_mov_b32 s2, 0
	s_delay_alu instid0(VALU_DEP_1) | instskip(NEXT) | instid1(VALU_DEP_2)
	v_add_co_u32 v9, vcc_lo, v21, v9
	v_add_co_ci_u32_e32 v10, vcc_lo, v22, v10, vcc_lo
	global_store_b32 v[9:10], v8, off
.LBB91_32:                              ;   in Loop: Header=BB91_13 Depth=1
	s_and_not1_b32 vcc_lo, exec_lo, s2
	s_cbranch_vccnz .LBB91_12
; %bb.33:                               ;   in Loop: Header=BB91_13 Depth=1
	v_mul_lo_u32 v7, v7, s14
	v_mul_lo_u32 v11, v6, s15
	v_mad_u64_u32 v[9:10], null, v6, s14, 0
	s_delay_alu instid0(VALU_DEP_1) | instskip(NEXT) | instid1(VALU_DEP_1)
	v_add3_u32 v10, v10, v11, v7
	v_lshlrev_b64 v[6:7], 2, v[9:10]
	s_delay_alu instid0(VALU_DEP_1) | instskip(NEXT) | instid1(VALU_DEP_2)
	v_add_co_u32 v6, vcc_lo, v23, v6
	v_add_co_ci_u32_e32 v7, vcc_lo, v24, v7, vcc_lo
	global_store_b32 v[6:7], v8, off
	s_branch .LBB91_12
.LBB91_34:
	s_nop 0
	s_sendmsg sendmsg(MSG_DEALLOC_VGPRS)
	s_endpgm
	.section	.rodata,"a",@progbits
	.p2align	6, 0x0
	.amdhsa_kernel _ZN9rocsparseL29bsrmmnt_small_blockdim_kernelILj64ELj32ELj2EllaaiiEEv20rocsparse_direction_T3_S2_llNS_24const_host_device_scalarIT7_EEPKT2_PKS2_PKT4_PKT5_llS5_PT6_ll16rocsparse_order_21rocsparse_index_base_b
		.amdhsa_group_segment_fixed_size 704
		.amdhsa_private_segment_fixed_size 0
		.amdhsa_kernarg_size 400
		.amdhsa_user_sgpr_count 15
		.amdhsa_user_sgpr_dispatch_ptr 0
		.amdhsa_user_sgpr_queue_ptr 0
		.amdhsa_user_sgpr_kernarg_segment_ptr 1
		.amdhsa_user_sgpr_dispatch_id 0
		.amdhsa_user_sgpr_private_segment_size 0
		.amdhsa_wavefront_size32 1
		.amdhsa_uses_dynamic_stack 0
		.amdhsa_enable_private_segment 0
		.amdhsa_system_sgpr_workgroup_id_x 1
		.amdhsa_system_sgpr_workgroup_id_y 0
		.amdhsa_system_sgpr_workgroup_id_z 0
		.amdhsa_system_sgpr_workgroup_info 0
		.amdhsa_system_vgpr_workitem_id 0
		.amdhsa_next_free_vgpr 32
		.amdhsa_next_free_sgpr 27
		.amdhsa_reserve_vcc 1
		.amdhsa_float_round_mode_32 0
		.amdhsa_float_round_mode_16_64 0
		.amdhsa_float_denorm_mode_32 3
		.amdhsa_float_denorm_mode_16_64 3
		.amdhsa_dx10_clamp 1
		.amdhsa_ieee_mode 1
		.amdhsa_fp16_overflow 0
		.amdhsa_workgroup_processor_mode 1
		.amdhsa_memory_ordered 1
		.amdhsa_forward_progress 0
		.amdhsa_shared_vgpr_count 0
		.amdhsa_exception_fp_ieee_invalid_op 0
		.amdhsa_exception_fp_denorm_src 0
		.amdhsa_exception_fp_ieee_div_zero 0
		.amdhsa_exception_fp_ieee_overflow 0
		.amdhsa_exception_fp_ieee_underflow 0
		.amdhsa_exception_fp_ieee_inexact 0
		.amdhsa_exception_int_div_zero 0
	.end_amdhsa_kernel
	.section	.text._ZN9rocsparseL29bsrmmnt_small_blockdim_kernelILj64ELj32ELj2EllaaiiEEv20rocsparse_direction_T3_S2_llNS_24const_host_device_scalarIT7_EEPKT2_PKS2_PKT4_PKT5_llS5_PT6_ll16rocsparse_order_21rocsparse_index_base_b,"axG",@progbits,_ZN9rocsparseL29bsrmmnt_small_blockdim_kernelILj64ELj32ELj2EllaaiiEEv20rocsparse_direction_T3_S2_llNS_24const_host_device_scalarIT7_EEPKT2_PKS2_PKT4_PKT5_llS5_PT6_ll16rocsparse_order_21rocsparse_index_base_b,comdat
.Lfunc_end91:
	.size	_ZN9rocsparseL29bsrmmnt_small_blockdim_kernelILj64ELj32ELj2EllaaiiEEv20rocsparse_direction_T3_S2_llNS_24const_host_device_scalarIT7_EEPKT2_PKS2_PKT4_PKT5_llS5_PT6_ll16rocsparse_order_21rocsparse_index_base_b, .Lfunc_end91-_ZN9rocsparseL29bsrmmnt_small_blockdim_kernelILj64ELj32ELj2EllaaiiEEv20rocsparse_direction_T3_S2_llNS_24const_host_device_scalarIT7_EEPKT2_PKS2_PKT4_PKT5_llS5_PT6_ll16rocsparse_order_21rocsparse_index_base_b
                                        ; -- End function
	.section	.AMDGPU.csdata,"",@progbits
; Kernel info:
; codeLenInByte = 1640
; NumSgprs: 29
; NumVgprs: 32
; ScratchSize: 0
; MemoryBound: 0
; FloatMode: 240
; IeeeMode: 1
; LDSByteSize: 704 bytes/workgroup (compile time only)
; SGPRBlocks: 3
; VGPRBlocks: 3
; NumSGPRsForWavesPerEU: 29
; NumVGPRsForWavesPerEU: 32
; Occupancy: 16
; WaveLimiterHint : 1
; COMPUTE_PGM_RSRC2:SCRATCH_EN: 0
; COMPUTE_PGM_RSRC2:USER_SGPR: 15
; COMPUTE_PGM_RSRC2:TRAP_HANDLER: 0
; COMPUTE_PGM_RSRC2:TGID_X_EN: 1
; COMPUTE_PGM_RSRC2:TGID_Y_EN: 0
; COMPUTE_PGM_RSRC2:TGID_Z_EN: 0
; COMPUTE_PGM_RSRC2:TIDIG_COMP_CNT: 0
	.section	.text._ZN9rocsparseL29bsrmmnt_small_blockdim_kernelILj64ELj64ELj2EllaaiiEEv20rocsparse_direction_T3_S2_llNS_24const_host_device_scalarIT7_EEPKT2_PKS2_PKT4_PKT5_llS5_PT6_ll16rocsparse_order_21rocsparse_index_base_b,"axG",@progbits,_ZN9rocsparseL29bsrmmnt_small_blockdim_kernelILj64ELj64ELj2EllaaiiEEv20rocsparse_direction_T3_S2_llNS_24const_host_device_scalarIT7_EEPKT2_PKS2_PKT4_PKT5_llS5_PT6_ll16rocsparse_order_21rocsparse_index_base_b,comdat
	.globl	_ZN9rocsparseL29bsrmmnt_small_blockdim_kernelILj64ELj64ELj2EllaaiiEEv20rocsparse_direction_T3_S2_llNS_24const_host_device_scalarIT7_EEPKT2_PKS2_PKT4_PKT5_llS5_PT6_ll16rocsparse_order_21rocsparse_index_base_b ; -- Begin function _ZN9rocsparseL29bsrmmnt_small_blockdim_kernelILj64ELj64ELj2EllaaiiEEv20rocsparse_direction_T3_S2_llNS_24const_host_device_scalarIT7_EEPKT2_PKS2_PKT4_PKT5_llS5_PT6_ll16rocsparse_order_21rocsparse_index_base_b
	.p2align	8
	.type	_ZN9rocsparseL29bsrmmnt_small_blockdim_kernelILj64ELj64ELj2EllaaiiEEv20rocsparse_direction_T3_S2_llNS_24const_host_device_scalarIT7_EEPKT2_PKS2_PKT4_PKT5_llS5_PT6_ll16rocsparse_order_21rocsparse_index_base_b,@function
_ZN9rocsparseL29bsrmmnt_small_blockdim_kernelILj64ELj64ELj2EllaaiiEEv20rocsparse_direction_T3_S2_llNS_24const_host_device_scalarIT7_EEPKT2_PKS2_PKT4_PKT5_llS5_PT6_ll16rocsparse_order_21rocsparse_index_base_b: ; @_ZN9rocsparseL29bsrmmnt_small_blockdim_kernelILj64ELj64ELj2EllaaiiEEv20rocsparse_direction_T3_S2_llNS_24const_host_device_scalarIT7_EEPKT2_PKS2_PKT4_PKT5_llS5_PT6_ll16rocsparse_order_21rocsparse_index_base_b
; %bb.0:
	s_clause 0x1
	s_load_b128 s[20:23], s[0:1], 0x80
	s_load_b64 s[4:5], s[0:1], 0x28
	s_mov_b32 s7, -1
	s_waitcnt lgkmcnt(0)
	s_bitcmp1_b32 s22, 0
                                        ; implicit-def: $sgpr22
	s_cselect_b32 s2, -1, 0
	s_delay_alu instid0(SALU_CYCLE_1) | instskip(NEXT) | instid1(SALU_CYCLE_1)
	s_xor_b32 s6, s2, -1
	s_and_b32 vcc_lo, exec_lo, s6
	s_cbranch_vccnz .LBB92_4
; %bb.1:
	s_load_b64 s[2:3], s[0:1], 0x60
	s_and_not1_b32 vcc_lo, exec_lo, s7
	s_cbranch_vccz .LBB92_5
.LBB92_2:
	s_and_b32 vcc_lo, exec_lo, s6
	s_cbranch_vccz .LBB92_6
.LBB92_3:
	s_waitcnt lgkmcnt(0)
	s_load_b32 s3, s[2:3], 0x0
	s_cbranch_execz .LBB92_7
	s_branch .LBB92_8
.LBB92_4:
	s_load_b32 s22, s[4:5], 0x0
	s_load_b64 s[2:3], s[0:1], 0x60
	s_cbranch_execnz .LBB92_2
.LBB92_5:
	s_waitcnt lgkmcnt(0)
	s_mov_b32 s22, s4
	s_and_b32 vcc_lo, exec_lo, s6
	s_cbranch_vccnz .LBB92_3
.LBB92_6:
                                        ; implicit-def: $sgpr3
.LBB92_7:
	s_waitcnt lgkmcnt(0)
	s_mov_b32 s3, s2
.LBB92_8:
	s_waitcnt lgkmcnt(0)
	s_cmp_eq_u32 s22, 0
	s_cselect_b32 s2, -1, 0
	s_cmp_eq_u32 s3, 1
	s_cselect_b32 s4, -1, 0
	s_delay_alu instid0(SALU_CYCLE_1) | instskip(NEXT) | instid1(SALU_CYCLE_1)
	s_and_b32 s2, s2, s4
	s_and_b32 vcc_lo, exec_lo, s2
	s_cbranch_vccnz .LBB92_34
; %bb.9:
	s_clause 0x1
	s_load_b32 s2, s[0:1], 0x9c
	s_load_b128 s[16:19], s[0:1], 0x8
	v_mov_b32_e32 v3, 0
	s_waitcnt lgkmcnt(0)
	s_and_b32 s2, s2, 0xffff
	s_delay_alu instid0(SALU_CYCLE_1) | instskip(SKIP_1) | instid1(VALU_DEP_1)
	v_mad_u64_u32 v[1:2], null, s15, s2, v[0:1]
	s_mov_b32 s2, exec_lo
	v_lshrrev_b32_e32 v2, 7, v1
	s_delay_alu instid0(VALU_DEP_1)
	v_cmpx_gt_i64_e64 s[16:17], v[2:3]
	s_cbranch_execz .LBB92_34
; %bb.10:
	v_cmp_lt_i64_e64 s2, s[18:19], 1
	s_delay_alu instid0(VALU_DEP_1)
	s_and_b32 vcc_lo, exec_lo, s2
	s_cbranch_vccnz .LBB92_34
; %bb.11:
	s_load_b256 s[4:11], s[0:1], 0x30
	v_lshlrev_b32_e32 v2, 3, v2
	s_load_b128 s[12:15], s[0:1], 0x68
	v_lshrrev_b32_e32 v11, 6, v1
	s_cmp_lg_u32 s3, 0
	v_dual_mov_b32 v6, 0 :: v_dual_lshlrev_b32 v17, 3, v0
	s_cselect_b32 s17, -1, 0
	s_cmp_lg_u32 s20, 1
	s_mov_b32 s16, s21
	s_cselect_b32 s20, -1, 0
	s_waitcnt lgkmcnt(0)
	global_load_b128 v[7:10], v2, s[4:5]
	s_load_b64 s[4:5], s[0:1], 0x50
	v_mad_u64_u32 v[2:3], null, v11, s14, 0
	s_load_b32 s0, s[0:1], 0x0
	s_delay_alu instid0(VALU_DEP_1) | instskip(SKIP_3) | instid1(VALU_DEP_2)
	v_mad_u64_u32 v[4:5], null, v11, s15, v[3:4]
	v_bfe_u32 v5, v1, 6, 1
	v_mul_u32_u24_e32 v1, 3, v0
	v_lshlrev_b32_e32 v11, 2, v11
	v_or_b32_e32 v18, 0x200, v1
	v_mov_b32_e32 v3, v4
	s_delay_alu instid0(VALU_DEP_3) | instskip(NEXT) | instid1(VALU_DEP_1)
	v_add_co_u32 v21, s2, s12, v11
	v_add_co_ci_u32_e64 v22, null, s13, 0, s2
	s_delay_alu instid0(VALU_DEP_3) | instskip(SKIP_3) | instid1(SALU_CYCLE_1)
	v_lshlrev_b64 v[3:4], 2, v[2:3]
	s_waitcnt lgkmcnt(0)
	s_cmp_eq_u32 s0, 0
	s_cselect_b32 s1, -1, 0
	v_cndmask_b32_e64 v12, 0, 1, s1
	s_delay_alu instid0(VALU_DEP_2) | instskip(SKIP_1) | instid1(VALU_DEP_3)
	v_add_co_u32 v19, vcc_lo, s12, v3
	v_add_co_ci_u32_e32 v20, vcc_lo, s13, v4, vcc_lo
	v_lshlrev_b64 v[1:2], v12, v[5:6]
	s_and_b32 s1, s1, exec_lo
	s_mov_b64 s[12:13], 0
	s_waitcnt vmcnt(0)
	v_sub_co_u32 v3, vcc_lo, v7, s21
	v_subrev_co_ci_u32_e32 v4, vcc_lo, 0, v8, vcc_lo
	v_sub_co_u32 v5, vcc_lo, v9, s21
	v_cmp_lt_i64_e64 s0, v[7:8], v[9:10]
	v_subrev_co_ci_u32_e32 v6, vcc_lo, 0, v10, vcc_lo
	s_cselect_b32 s21, 1, 2
	s_branch .LBB92_13
.LBB92_12:                              ;   in Loop: Header=BB92_13 Depth=1
	s_or_b32 exec_lo, exec_lo, s1
	s_add_u32 s12, s12, 64
	s_addc_u32 s13, s13, 0
	s_delay_alu instid0(SALU_CYCLE_1) | instskip(NEXT) | instid1(VALU_DEP_1)
	v_cmp_lt_i64_e64 s1, s[12:13], s[18:19]
	s_and_b32 vcc_lo, exec_lo, s1
	s_cbranch_vccz .LBB92_34
.LBB92_13:                              ; =>This Loop Header: Depth=1
                                        ;     Child Loop BB92_16 Depth 2
                                        ;       Child Loop BB92_20 Depth 3
	v_or_b32_e64 v8, s13, 0
	v_or_b32_e32 v7, s12, v0
	v_mov_b32_e32 v23, 0
	s_and_saveexec_b32 s23, s0
	s_cbranch_execz .LBB92_22
; %bb.14:                               ;   in Loop: Header=BB92_13 Depth=1
	s_delay_alu instid0(VALU_DEP_2)
	v_add_co_u32 v9, s1, s10, v7
	v_cmp_gt_i64_e32 vcc_lo, s[18:19], v[7:8]
	v_dual_mov_b32 v23, 0 :: v_dual_mov_b32 v12, v4
	v_add_co_ci_u32_e64 v10, s1, s11, v8, s1
	v_mov_b32_e32 v11, v3
	s_mov_b32 s24, 0
	s_branch .LBB92_16
.LBB92_15:                              ;   in Loop: Header=BB92_16 Depth=2
	s_or_b32 exec_lo, exec_lo, s25
	v_add_co_u32 v11, s1, v11, 64
	s_delay_alu instid0(VALU_DEP_1) | instskip(NEXT) | instid1(VALU_DEP_1)
	v_add_co_ci_u32_e64 v12, s1, 0, v12, s1
	v_cmp_ge_i64_e64 s1, v[11:12], v[5:6]
	s_delay_alu instid0(VALU_DEP_1) | instskip(NEXT) | instid1(SALU_CYCLE_1)
	s_or_b32 s24, s1, s24
	s_and_not1_b32 exec_lo, exec_lo, s24
	s_cbranch_execz .LBB92_21
.LBB92_16:                              ;   Parent Loop BB92_13 Depth=1
                                        ; =>  This Loop Header: Depth=2
                                        ;       Child Loop BB92_20 Depth 3
	s_delay_alu instid0(VALU_DEP_1) | instskip(SKIP_4) | instid1(VALU_DEP_2)
	v_add_co_u32 v13, s1, v11, v0
	v_dual_mov_b32 v15, 0 :: v_dual_mov_b32 v24, 0
	v_add_co_ci_u32_e64 v14, s1, 0, v12, s1
	v_dual_mov_b32 v16, 0 :: v_dual_mov_b32 v25, 0
	s_mov_b32 s2, exec_lo
	v_cmpx_lt_i64_e64 v[13:14], v[5:6]
	s_cbranch_execz .LBB92_18
; %bb.17:                               ;   in Loop: Header=BB92_16 Depth=2
	v_lshlrev_b64 v[15:16], 3, v[13:14]
	v_lshlrev_b64 v[13:14], 2, v[13:14]
	s_delay_alu instid0(VALU_DEP_2) | instskip(NEXT) | instid1(VALU_DEP_1)
	v_add_co_u32 v15, s1, s6, v15
	v_add_co_ci_u32_e64 v16, s1, s7, v16, s1
	s_delay_alu instid0(VALU_DEP_3) | instskip(NEXT) | instid1(VALU_DEP_4)
	v_or_b32_e32 v25, v13, v1
	v_or_b32_e32 v24, v14, v2
	global_load_b64 v[13:14], v[15:16], off
	v_or_b32_e32 v27, s21, v25
	v_or_b32_e32 v26, 0, v24
	v_add_co_u32 v15, s1, s8, v25
	s_delay_alu instid0(VALU_DEP_1) | instskip(NEXT) | instid1(VALU_DEP_4)
	v_add_co_ci_u32_e64 v16, s1, s9, v24, s1
	v_add_co_u32 v25, s1, s8, v27
	s_delay_alu instid0(VALU_DEP_1)
	v_add_co_ci_u32_e64 v26, s1, s9, v26, s1
	s_clause 0x1
	global_load_u8 v24, v[15:16], off
	global_load_u8 v25, v[25:26], off
	s_waitcnt vmcnt(2)
	v_sub_co_u32 v13, s1, v13, s16
	s_delay_alu instid0(VALU_DEP_1) | instskip(NEXT) | instid1(VALU_DEP_1)
	v_subrev_co_ci_u32_e64 v14, s1, 0, v14, s1
	v_lshlrev_b64 v[15:16], 1, v[13:14]
.LBB92_18:                              ;   in Loop: Header=BB92_16 Depth=2
	s_or_b32 exec_lo, exec_lo, s2
	ds_store_b64 v17, v[15:16]
	s_waitcnt vmcnt(1)
	ds_store_b8 v18, v24
	s_waitcnt vmcnt(0)
	ds_store_b8 v18, v25 offset:1
	s_waitcnt lgkmcnt(0)
	s_waitcnt_vscnt null, 0x0
	s_barrier
	buffer_gl0_inv
	s_and_saveexec_b32 s25, vcc_lo
	s_cbranch_execz .LBB92_15
; %bb.19:                               ;   in Loop: Header=BB92_16 Depth=2
	v_mov_b32_e32 v13, 0
	s_mov_b32 s26, 0
.LBB92_20:                              ;   Parent Loop BB92_13 Depth=1
                                        ;     Parent Loop BB92_16 Depth=2
                                        ; =>    This Inner Loop Header: Depth=3
	ds_load_b128 v[24:27], v13
	v_add_nc_u32_e32 v13, 16, v13
	s_waitcnt lgkmcnt(0)
	v_mad_u64_u32 v[14:15], null, v24, s4, v[9:10]
	v_mul_lo_u32 v16, v24, s5
	v_mul_lo_u32 v28, v25, s4
	v_mad_u64_u32 v[24:25], null, v26, s4, v[9:10]
	v_mul_lo_u32 v26, v26, s5
	v_mul_lo_u32 v27, v27, s4
	s_delay_alu instid0(VALU_DEP_4) | instskip(SKIP_1) | instid1(VALU_DEP_3)
	v_add3_u32 v15, v28, v15, v16
	v_add_co_u32 v28, s2, v14, s4
	v_add3_u32 v25, v27, v25, v26
	v_add_co_u32 v26, s1, v24, s4
	s_delay_alu instid0(VALU_DEP_4) | instskip(NEXT) | instid1(VALU_DEP_3)
	v_add_co_ci_u32_e64 v29, s2, s5, v15, s2
	v_add_co_ci_u32_e64 v27, s1, s5, v25, s1
	s_clause 0x3
	global_load_i8 v14, v[14:15], off
	global_load_i8 v15, v[24:25], off
	;; [unrolled: 1-line block ×4, first 2 shown]
	v_add_nc_u32_e64 v25, 0x200, s26
	ds_load_u16 v26, v25
	ds_load_i8 v27, v25 offset:3
	ds_load_i8 v25, v25 offset:4
	s_add_i32 s26, s26, 6
	s_delay_alu instid0(SALU_CYCLE_1)
	s_cmpk_lg_i32 s26, 0xc0
	s_waitcnt lgkmcnt(2)
	v_perm_b32 v26, v26, v26, 0xc0c0100
	s_waitcnt lgkmcnt(0)
	v_perm_b32 v25, v25, v27, 0x4000c0c
	s_waitcnt vmcnt(1)
	v_perm_b32 v14, v16, v14, 0xc0c0400
	s_waitcnt vmcnt(0)
	v_perm_b32 v15, v24, v15, 0x4000c0c
	v_or_b32_e32 v16, v25, v26
	s_delay_alu instid0(VALU_DEP_2) | instskip(NEXT) | instid1(VALU_DEP_1)
	v_or_b32_e32 v14, v15, v14
	v_dot4_i32_iu8 v23, v16, v14, v23 neg_lo:[1,1,0]
	s_cbranch_scc1 .LBB92_20
	s_branch .LBB92_15
.LBB92_21:                              ;   in Loop: Header=BB92_13 Depth=1
	s_or_b32 exec_lo, exec_lo, s24
.LBB92_22:                              ;   in Loop: Header=BB92_13 Depth=1
	s_delay_alu instid0(SALU_CYCLE_1) | instskip(NEXT) | instid1(SALU_CYCLE_1)
	s_or_b32 exec_lo, exec_lo, s23
	s_mov_b32 s1, exec_lo
	v_cmpx_gt_i64_e64 s[18:19], v[7:8]
	s_cbranch_execz .LBB92_12
; %bb.23:                               ;   in Loop: Header=BB92_13 Depth=1
	s_and_b32 vcc_lo, exec_lo, s17
	s_cbranch_vccz .LBB92_29
; %bb.24:                               ;   in Loop: Header=BB92_13 Depth=1
	s_and_b32 vcc_lo, exec_lo, s20
	s_mov_b32 s2, -1
	s_cbranch_vccz .LBB92_26
; %bb.25:                               ;   in Loop: Header=BB92_13 Depth=1
	v_lshlrev_b64 v[9:10], 2, v[7:8]
	v_mul_lo_u32 v11, v23, s22
	s_mov_b32 s2, 0
	s_delay_alu instid0(VALU_DEP_2) | instskip(NEXT) | instid1(VALU_DEP_3)
	v_add_co_u32 v9, vcc_lo, v19, v9
	v_add_co_ci_u32_e32 v10, vcc_lo, v20, v10, vcc_lo
	global_load_b32 v14, v[9:10], off
	s_waitcnt vmcnt(0)
	v_mad_u64_u32 v[12:13], null, v14, s3, v[11:12]
	global_store_b32 v[9:10], v12, off
.LBB92_26:                              ;   in Loop: Header=BB92_13 Depth=1
	s_and_not1_b32 vcc_lo, exec_lo, s2
	s_cbranch_vccnz .LBB92_28
; %bb.27:                               ;   in Loop: Header=BB92_13 Depth=1
	v_mul_lo_u32 v11, v8, s14
	v_mul_lo_u32 v12, v7, s15
	v_mad_u64_u32 v[9:10], null, v7, s14, 0
	s_delay_alu instid0(VALU_DEP_1) | instskip(SKIP_1) | instid1(VALU_DEP_2)
	v_add3_u32 v10, v10, v12, v11
	v_mul_lo_u32 v11, v23, s22
	v_lshlrev_b64 v[9:10], 2, v[9:10]
	s_delay_alu instid0(VALU_DEP_1) | instskip(NEXT) | instid1(VALU_DEP_2)
	v_add_co_u32 v9, vcc_lo, v21, v9
	v_add_co_ci_u32_e32 v10, vcc_lo, v22, v10, vcc_lo
	global_load_b32 v14, v[9:10], off
	s_waitcnt vmcnt(0)
	v_mad_u64_u32 v[12:13], null, v14, s3, v[11:12]
	global_store_b32 v[9:10], v12, off
.LBB92_28:                              ;   in Loop: Header=BB92_13 Depth=1
	s_cbranch_execnz .LBB92_12
	s_branch .LBB92_30
.LBB92_29:                              ;   in Loop: Header=BB92_13 Depth=1
.LBB92_30:                              ;   in Loop: Header=BB92_13 Depth=1
	v_mul_lo_u32 v9, v23, s22
	s_and_b32 vcc_lo, exec_lo, s20
	s_mov_b32 s2, -1
	s_cbranch_vccz .LBB92_32
; %bb.31:                               ;   in Loop: Header=BB92_13 Depth=1
	v_lshlrev_b64 v[10:11], 2, v[7:8]
	s_mov_b32 s2, 0
	s_delay_alu instid0(VALU_DEP_1) | instskip(NEXT) | instid1(VALU_DEP_2)
	v_add_co_u32 v10, vcc_lo, v19, v10
	v_add_co_ci_u32_e32 v11, vcc_lo, v20, v11, vcc_lo
	global_store_b32 v[10:11], v9, off
.LBB92_32:                              ;   in Loop: Header=BB92_13 Depth=1
	s_and_not1_b32 vcc_lo, exec_lo, s2
	s_cbranch_vccnz .LBB92_12
; %bb.33:                               ;   in Loop: Header=BB92_13 Depth=1
	v_mul_lo_u32 v8, v8, s14
	v_mul_lo_u32 v12, v7, s15
	v_mad_u64_u32 v[10:11], null, v7, s14, 0
	s_delay_alu instid0(VALU_DEP_1) | instskip(NEXT) | instid1(VALU_DEP_1)
	v_add3_u32 v11, v11, v12, v8
	v_lshlrev_b64 v[7:8], 2, v[10:11]
	s_delay_alu instid0(VALU_DEP_1) | instskip(NEXT) | instid1(VALU_DEP_2)
	v_add_co_u32 v7, vcc_lo, v21, v7
	v_add_co_ci_u32_e32 v8, vcc_lo, v22, v8, vcc_lo
	global_store_b32 v[7:8], v9, off
	s_branch .LBB92_12
.LBB92_34:
	s_nop 0
	s_sendmsg sendmsg(MSG_DEALLOC_VGPRS)
	s_endpgm
	.section	.rodata,"a",@progbits
	.p2align	6, 0x0
	.amdhsa_kernel _ZN9rocsparseL29bsrmmnt_small_blockdim_kernelILj64ELj64ELj2EllaaiiEEv20rocsparse_direction_T3_S2_llNS_24const_host_device_scalarIT7_EEPKT2_PKS2_PKT4_PKT5_llS5_PT6_ll16rocsparse_order_21rocsparse_index_base_b
		.amdhsa_group_segment_fixed_size 704
		.amdhsa_private_segment_fixed_size 0
		.amdhsa_kernarg_size 400
		.amdhsa_user_sgpr_count 15
		.amdhsa_user_sgpr_dispatch_ptr 0
		.amdhsa_user_sgpr_queue_ptr 0
		.amdhsa_user_sgpr_kernarg_segment_ptr 1
		.amdhsa_user_sgpr_dispatch_id 0
		.amdhsa_user_sgpr_private_segment_size 0
		.amdhsa_wavefront_size32 1
		.amdhsa_uses_dynamic_stack 0
		.amdhsa_enable_private_segment 0
		.amdhsa_system_sgpr_workgroup_id_x 1
		.amdhsa_system_sgpr_workgroup_id_y 0
		.amdhsa_system_sgpr_workgroup_id_z 0
		.amdhsa_system_sgpr_workgroup_info 0
		.amdhsa_system_vgpr_workitem_id 0
		.amdhsa_next_free_vgpr 30
		.amdhsa_next_free_sgpr 27
		.amdhsa_reserve_vcc 1
		.amdhsa_float_round_mode_32 0
		.amdhsa_float_round_mode_16_64 0
		.amdhsa_float_denorm_mode_32 3
		.amdhsa_float_denorm_mode_16_64 3
		.amdhsa_dx10_clamp 1
		.amdhsa_ieee_mode 1
		.amdhsa_fp16_overflow 0
		.amdhsa_workgroup_processor_mode 1
		.amdhsa_memory_ordered 1
		.amdhsa_forward_progress 0
		.amdhsa_shared_vgpr_count 0
		.amdhsa_exception_fp_ieee_invalid_op 0
		.amdhsa_exception_fp_denorm_src 0
		.amdhsa_exception_fp_ieee_div_zero 0
		.amdhsa_exception_fp_ieee_overflow 0
		.amdhsa_exception_fp_ieee_underflow 0
		.amdhsa_exception_fp_ieee_inexact 0
		.amdhsa_exception_int_div_zero 0
	.end_amdhsa_kernel
	.section	.text._ZN9rocsparseL29bsrmmnt_small_blockdim_kernelILj64ELj64ELj2EllaaiiEEv20rocsparse_direction_T3_S2_llNS_24const_host_device_scalarIT7_EEPKT2_PKS2_PKT4_PKT5_llS5_PT6_ll16rocsparse_order_21rocsparse_index_base_b,"axG",@progbits,_ZN9rocsparseL29bsrmmnt_small_blockdim_kernelILj64ELj64ELj2EllaaiiEEv20rocsparse_direction_T3_S2_llNS_24const_host_device_scalarIT7_EEPKT2_PKS2_PKT4_PKT5_llS5_PT6_ll16rocsparse_order_21rocsparse_index_base_b,comdat
.Lfunc_end92:
	.size	_ZN9rocsparseL29bsrmmnt_small_blockdim_kernelILj64ELj64ELj2EllaaiiEEv20rocsparse_direction_T3_S2_llNS_24const_host_device_scalarIT7_EEPKT2_PKS2_PKT4_PKT5_llS5_PT6_ll16rocsparse_order_21rocsparse_index_base_b, .Lfunc_end92-_ZN9rocsparseL29bsrmmnt_small_blockdim_kernelILj64ELj64ELj2EllaaiiEEv20rocsparse_direction_T3_S2_llNS_24const_host_device_scalarIT7_EEPKT2_PKS2_PKT4_PKT5_llS5_PT6_ll16rocsparse_order_21rocsparse_index_base_b
                                        ; -- End function
	.section	.AMDGPU.csdata,"",@progbits
; Kernel info:
; codeLenInByte = 1620
; NumSgprs: 29
; NumVgprs: 30
; ScratchSize: 0
; MemoryBound: 0
; FloatMode: 240
; IeeeMode: 1
; LDSByteSize: 704 bytes/workgroup (compile time only)
; SGPRBlocks: 3
; VGPRBlocks: 3
; NumSGPRsForWavesPerEU: 29
; NumVGPRsForWavesPerEU: 30
; Occupancy: 16
; WaveLimiterHint : 1
; COMPUTE_PGM_RSRC2:SCRATCH_EN: 0
; COMPUTE_PGM_RSRC2:USER_SGPR: 15
; COMPUTE_PGM_RSRC2:TRAP_HANDLER: 0
; COMPUTE_PGM_RSRC2:TGID_X_EN: 1
; COMPUTE_PGM_RSRC2:TGID_Y_EN: 0
; COMPUTE_PGM_RSRC2:TGID_Z_EN: 0
; COMPUTE_PGM_RSRC2:TIDIG_COMP_CNT: 0
	.section	.text._ZN9rocsparseL29bsrmmnt_small_blockdim_kernelILj64ELj8ELj2EiiaaffEEv20rocsparse_direction_T3_S2_llNS_24const_host_device_scalarIT7_EEPKT2_PKS2_PKT4_PKT5_llS5_PT6_ll16rocsparse_order_21rocsparse_index_base_b,"axG",@progbits,_ZN9rocsparseL29bsrmmnt_small_blockdim_kernelILj64ELj8ELj2EiiaaffEEv20rocsparse_direction_T3_S2_llNS_24const_host_device_scalarIT7_EEPKT2_PKS2_PKT4_PKT5_llS5_PT6_ll16rocsparse_order_21rocsparse_index_base_b,comdat
	.globl	_ZN9rocsparseL29bsrmmnt_small_blockdim_kernelILj64ELj8ELj2EiiaaffEEv20rocsparse_direction_T3_S2_llNS_24const_host_device_scalarIT7_EEPKT2_PKS2_PKT4_PKT5_llS5_PT6_ll16rocsparse_order_21rocsparse_index_base_b ; -- Begin function _ZN9rocsparseL29bsrmmnt_small_blockdim_kernelILj64ELj8ELj2EiiaaffEEv20rocsparse_direction_T3_S2_llNS_24const_host_device_scalarIT7_EEPKT2_PKS2_PKT4_PKT5_llS5_PT6_ll16rocsparse_order_21rocsparse_index_base_b
	.p2align	8
	.type	_ZN9rocsparseL29bsrmmnt_small_blockdim_kernelILj64ELj8ELj2EiiaaffEEv20rocsparse_direction_T3_S2_llNS_24const_host_device_scalarIT7_EEPKT2_PKS2_PKT4_PKT5_llS5_PT6_ll16rocsparse_order_21rocsparse_index_base_b,@function
_ZN9rocsparseL29bsrmmnt_small_blockdim_kernelILj64ELj8ELj2EiiaaffEEv20rocsparse_direction_T3_S2_llNS_24const_host_device_scalarIT7_EEPKT2_PKS2_PKT4_PKT5_llS5_PT6_ll16rocsparse_order_21rocsparse_index_base_b: ; @_ZN9rocsparseL29bsrmmnt_small_blockdim_kernelILj64ELj8ELj2EiiaaffEEv20rocsparse_direction_T3_S2_llNS_24const_host_device_scalarIT7_EEPKT2_PKS2_PKT4_PKT5_llS5_PT6_ll16rocsparse_order_21rocsparse_index_base_b
; %bb.0:
	s_clause 0x2
	s_load_b128 s[16:19], s[0:1], 0x78
	s_load_b64 s[2:3], s[0:1], 0x20
	s_load_b64 s[24:25], s[0:1], 0x58
	s_waitcnt lgkmcnt(0)
	s_bitcmp1_b32 s18, 0
	s_cselect_b32 s4, -1, 0
	s_delay_alu instid0(SALU_CYCLE_1)
	s_and_b32 vcc_lo, exec_lo, s4
	s_xor_b32 s4, s4, -1
	s_cbranch_vccnz .LBB93_2
; %bb.1:
	s_load_b32 s2, s[2:3], 0x0
.LBB93_2:
	s_and_not1_b32 vcc_lo, exec_lo, s4
	s_cbranch_vccnz .LBB93_4
; %bb.3:
	s_load_b32 s24, s[24:25], 0x0
.LBB93_4:
	s_waitcnt lgkmcnt(0)
	v_cmp_eq_f32_e64 s3, s2, 0
	v_cmp_eq_f32_e64 s4, s24, 1.0
	s_delay_alu instid0(VALU_DEP_1) | instskip(NEXT) | instid1(SALU_CYCLE_1)
	s_and_b32 s3, s3, s4
	s_and_b32 vcc_lo, exec_lo, s3
	s_cbranch_vccnz .LBB93_30
; %bb.5:
	s_clause 0x1
	s_load_b32 s3, s[0:1], 0x94
	s_load_b128 s[20:23], s[0:1], 0x0
	s_waitcnt lgkmcnt(0)
	s_and_b32 s3, s3, 0xffff
	s_delay_alu instid0(SALU_CYCLE_1) | instskip(SKIP_1) | instid1(VALU_DEP_1)
	v_mad_u64_u32 v[1:2], null, s15, s3, v[0:1]
	s_mov_b32 s3, exec_lo
	v_lshrrev_b32_e32 v2, 4, v1
	s_delay_alu instid0(VALU_DEP_1)
	v_cmpx_gt_i32_e64 s21, v2
	s_cbranch_execz .LBB93_30
; %bb.6:
	s_cmp_lt_i32 s22, 1
	s_cbranch_scc1 .LBB93_30
; %bb.7:
	s_load_b256 s[4:11], s[0:1], 0x28
	v_lshlrev_b32_e32 v2, 2, v2
	s_load_b128 s[12:15], s[0:1], 0x60
	v_lshrrev_b32_e32 v9, 3, v1
	v_and_b32_e32 v6, 7, v0
	v_bfe_u32 v17, v1, 3, 1
	v_lshrrev_b32_e32 v7, 3, v0
	s_cmp_lg_u32 s16, 1
	v_lshlrev_b32_e32 v11, 2, v9
	s_cselect_b32 s16, -1, 0
	s_cmp_eq_u32 s20, 0
	v_cmp_neq_f32_e64 s3, s24, 0
	s_waitcnt lgkmcnt(0)
	global_load_b64 v[2:3], v2, s[4:5]
	s_load_b64 s[4:5], s[0:1], 0x48
	v_mad_u64_u32 v[4:5], null, v9, s14, 0
	s_cselect_b32 s1, -1, 0
	v_add_co_u32 v11, s0, s12, v11
	v_cndmask_b32_e64 v18, 0, 1, s1
	v_add_co_ci_u32_e64 v12, null, s13, 0, s0
	s_delay_alu instid0(VALU_DEP_4) | instskip(SKIP_4) | instid1(VALU_DEP_3)
	v_mad_u64_u32 v[0:1], null, v9, s15, v[5:6]
	v_mul_u32_u24_e32 v1, 24, v7
	v_lshlrev_b32_e32 v7, 5, v7
	v_lshlrev_b32_e32 v17, v18, v17
	s_and_b32 s1, s1, exec_lo
	v_or_b32_e32 v8, 0x100, v1
	v_mov_b32_e32 v5, v0
	v_lshl_or_b32 v9, v6, 2, v7
	s_delay_alu instid0(VALU_DEP_3) | instskip(NEXT) | instid1(VALU_DEP_3)
	v_mad_u32_u24 v10, v6, 3, v8
	v_lshlrev_b64 v[0:1], 2, v[4:5]
	s_delay_alu instid0(VALU_DEP_1) | instskip(NEXT) | instid1(VALU_DEP_2)
	v_add_co_u32 v13, vcc_lo, s12, v0
	v_add_co_ci_u32_e32 v14, vcc_lo, s13, v1, vcc_lo
	s_mov_b32 s12, 0
	s_cselect_b32 s13, 1, 2
	s_waitcnt vmcnt(0)
	v_subrev_nc_u32_e32 v15, s17, v2
	v_subrev_nc_u32_e32 v16, s17, v3
	v_cmp_lt_i32_e64 s0, v2, v3
	s_branch .LBB93_9
.LBB93_8:                               ;   in Loop: Header=BB93_9 Depth=1
	s_or_b32 exec_lo, exec_lo, s1
	s_add_i32 s12, s12, 8
	s_delay_alu instid0(SALU_CYCLE_1)
	s_cmp_lt_i32 s12, s22
	s_cbranch_scc0 .LBB93_30
.LBB93_9:                               ; =>This Loop Header: Depth=1
                                        ;     Child Loop BB93_12 Depth 2
                                        ;       Child Loop BB93_16 Depth 3
	v_or_b32_e32 v0, s12, v6
	v_mov_b32_e32 v18, 0
	s_delay_alu instid0(VALU_DEP_2)
	v_ashrrev_i32_e32 v1, 31, v0
	s_and_saveexec_b32 s18, s0
	s_cbranch_execz .LBB93_18
; %bb.10:                               ;   in Loop: Header=BB93_9 Depth=1
	v_add_co_u32 v2, s1, s10, v0
	v_cmp_gt_i32_e32 vcc_lo, s22, v0
	v_add_co_ci_u32_e64 v3, s1, s11, v1, s1
	v_dual_mov_b32 v18, 0 :: v_dual_mov_b32 v19, v15
	s_mov_b32 s19, 0
	s_branch .LBB93_12
.LBB93_11:                              ;   in Loop: Header=BB93_12 Depth=2
	s_or_b32 exec_lo, exec_lo, s1
	v_add_nc_u32_e32 v19, 8, v19
	s_delay_alu instid0(VALU_DEP_1) | instskip(NEXT) | instid1(VALU_DEP_1)
	v_cmp_ge_i32_e64 s1, v19, v16
	s_or_b32 s19, s1, s19
	s_delay_alu instid0(SALU_CYCLE_1)
	s_and_not1_b32 exec_lo, exec_lo, s19
	s_cbranch_execz .LBB93_17
.LBB93_12:                              ;   Parent Loop BB93_9 Depth=1
                                        ; =>  This Loop Header: Depth=2
                                        ;       Child Loop BB93_16 Depth 3
	s_delay_alu instid0(VALU_DEP_1) | instskip(SKIP_2) | instid1(VALU_DEP_2)
	v_dual_mov_b32 v5, 0 :: v_dual_add_nc_u32 v4, v19, v6
	v_dual_mov_b32 v20, 0 :: v_dual_mov_b32 v21, 0
	s_mov_b32 s20, exec_lo
	v_cmpx_lt_i32_e64 v4, v16
	s_cbranch_execz .LBB93_14
; %bb.13:                               ;   in Loop: Header=BB93_12 Depth=2
	v_ashrrev_i32_e32 v5, 31, v4
	s_delay_alu instid0(VALU_DEP_1) | instskip(SKIP_1) | instid1(VALU_DEP_1)
	v_lshlrev_b64 v[20:21], 2, v[4:5]
	v_lshl_or_b32 v4, v4, 2, v17
	v_or_b32_e32 v5, s13, v4
	s_delay_alu instid0(VALU_DEP_3) | instskip(NEXT) | instid1(VALU_DEP_1)
	v_add_co_u32 v20, s1, s6, v20
	v_add_co_ci_u32_e64 v21, s1, s7, v21, s1
	global_load_b32 v20, v[20:21], off
	s_clause 0x1
	global_load_i8 v21, v5, s[8:9]
	global_load_u8 v5, v4, s[8:9]
	s_waitcnt vmcnt(1)
	v_cvt_f32_i32_e32 v21, v21
	v_subrev_nc_u32_e32 v4, s17, v20
	s_delay_alu instid0(VALU_DEP_1)
	v_lshlrev_b32_e32 v20, 1, v4
.LBB93_14:                              ;   in Loop: Header=BB93_12 Depth=2
	s_or_b32 exec_lo, exec_lo, s20
	s_delay_alu instid0(VALU_DEP_2)
	v_cvt_i32_f32_e32 v4, v21
	ds_store_b32 v9, v20
	s_waitcnt vmcnt(0)
	ds_store_b8 v10, v5
	ds_store_b8 v10, v4 offset:1
	s_waitcnt lgkmcnt(0)
	s_waitcnt_vscnt null, 0x0
	s_barrier
	buffer_gl0_inv
	s_and_saveexec_b32 s1, vcc_lo
	s_cbranch_execz .LBB93_11
; %bb.15:                               ;   in Loop: Header=BB93_12 Depth=2
	v_mov_b32_e32 v4, v8
	s_mov_b32 s20, 0
.LBB93_16:                              ;   Parent Loop BB93_9 Depth=1
                                        ;     Parent Loop BB93_12 Depth=2
                                        ; =>    This Inner Loop Header: Depth=3
	s_delay_alu instid0(SALU_CYCLE_1) | instskip(SKIP_1) | instid1(SALU_CYCLE_1)
	v_add_nc_u32_e32 v5, s20, v7
	s_add_i32 s20, s20, 8
	s_cmp_lg_u32 s20, 32
	ds_load_b64 v[20:21], v5
	s_waitcnt lgkmcnt(0)
	v_add_nc_u32_e32 v27, 1, v20
	v_ashrrev_i32_e32 v5, 31, v20
	v_mul_lo_u32 v26, v20, s5
	v_mad_u64_u32 v[22:23], null, v20, s4, v[2:3]
	s_delay_alu instid0(VALU_DEP_4)
	v_ashrrev_i32_e32 v31, 31, v27
	v_ashrrev_i32_e32 v28, 31, v21
	v_mul_lo_u32 v29, v21, s5
	v_mad_u64_u32 v[24:25], null, v21, s4, v[2:3]
	v_add_nc_u32_e32 v30, 1, v21
	v_mul_lo_u32 v5, v5, s4
	v_mul_lo_u32 v32, v27, s5
	v_mad_u64_u32 v[20:21], null, v27, s4, v[2:3]
	v_mul_lo_u32 v31, v31, s4
	v_ashrrev_i32_e32 v33, 31, v30
	v_mul_lo_u32 v28, v28, s4
	v_mul_lo_u32 v34, v30, s5
	v_add3_u32 v23, v5, v23, v26
	v_mad_u64_u32 v[26:27], null, v30, s4, v[2:3]
	v_add3_u32 v21, v31, v21, v32
	global_load_i8 v5, v[22:23], off
	v_add3_u32 v25, v28, v25, v29
	global_load_i8 v20, v[20:21], off
	v_mul_lo_u32 v22, v33, s4
	s_delay_alu instid0(VALU_DEP_1)
	v_add3_u32 v27, v22, v27, v34
	s_clause 0x1
	global_load_i8 v21, v[24:25], off
	global_load_i8 v22, v[26:27], off
	ds_load_u16 v23, v4
	ds_load_i8 v24, v4 offset:3
	ds_load_i8 v25, v4 offset:4
	v_add_nc_u32_e32 v4, 6, v4
	s_waitcnt lgkmcnt(2)
	v_bfe_i32 v26, v23, 0, 8
	v_ashrrev_i16 v23, 8, v23
	s_delay_alu instid0(VALU_DEP_2) | instskip(NEXT) | instid1(VALU_DEP_2)
	v_bfe_i32 v26, v26, 0, 16
	v_bfe_i32 v23, v23, 0, 16
	s_delay_alu instid0(VALU_DEP_2) | instskip(NEXT) | instid1(VALU_DEP_2)
	v_cvt_f32_i32_e32 v26, v26
	v_cvt_f32_i32_e32 v23, v23
	s_waitcnt vmcnt(3)
	v_cvt_f32_i32_e32 v5, v5
	s_delay_alu instid0(VALU_DEP_1) | instskip(SKIP_4) | instid1(VALU_DEP_2)
	v_fmac_f32_e32 v18, v26, v5
	s_waitcnt vmcnt(2)
	v_cvt_f32_i32_e32 v5, v20
	s_waitcnt lgkmcnt(1)
	v_cvt_f32_i32_e32 v20, v24
	v_fmac_f32_e32 v18, v23, v5
	s_waitcnt lgkmcnt(0)
	v_cvt_f32_i32_e32 v5, v25
	s_waitcnt vmcnt(1)
	v_cvt_f32_i32_e32 v21, v21
	s_waitcnt vmcnt(0)
	v_cvt_f32_i32_e32 v22, v22
	s_delay_alu instid0(VALU_DEP_2) | instskip(NEXT) | instid1(VALU_DEP_1)
	v_fmac_f32_e32 v18, v20, v21
	v_fmac_f32_e32 v18, v5, v22
	s_cbranch_scc1 .LBB93_16
	s_branch .LBB93_11
.LBB93_17:                              ;   in Loop: Header=BB93_9 Depth=1
	s_or_b32 exec_lo, exec_lo, s19
.LBB93_18:                              ;   in Loop: Header=BB93_9 Depth=1
	s_delay_alu instid0(SALU_CYCLE_1) | instskip(NEXT) | instid1(SALU_CYCLE_1)
	s_or_b32 exec_lo, exec_lo, s18
	s_mov_b32 s1, exec_lo
	v_cmpx_gt_i32_e64 s22, v0
	s_cbranch_execz .LBB93_8
; %bb.19:                               ;   in Loop: Header=BB93_9 Depth=1
	s_and_b32 vcc_lo, exec_lo, s3
	s_cbranch_vccz .LBB93_25
; %bb.20:                               ;   in Loop: Header=BB93_9 Depth=1
	s_and_b32 vcc_lo, exec_lo, s16
	s_mov_b32 s18, -1
	s_cbranch_vccz .LBB93_22
; %bb.21:                               ;   in Loop: Header=BB93_9 Depth=1
	v_lshlrev_b64 v[2:3], 2, v[0:1]
	v_mul_f32_e32 v5, s2, v18
	s_mov_b32 s18, 0
	s_delay_alu instid0(VALU_DEP_2) | instskip(NEXT) | instid1(VALU_DEP_3)
	v_add_co_u32 v2, vcc_lo, v13, v2
	v_add_co_ci_u32_e32 v3, vcc_lo, v14, v3, vcc_lo
	global_load_b32 v4, v[2:3], off
	s_waitcnt vmcnt(0)
	v_fmac_f32_e32 v5, s24, v4
	global_store_b32 v[2:3], v5, off
.LBB93_22:                              ;   in Loop: Header=BB93_9 Depth=1
	s_and_not1_b32 vcc_lo, exec_lo, s18
	s_cbranch_vccnz .LBB93_24
; %bb.23:                               ;   in Loop: Header=BB93_9 Depth=1
	v_mul_lo_u32 v4, v1, s14
	v_mul_lo_u32 v5, v0, s15
	v_mad_u64_u32 v[2:3], null, v0, s14, 0
	s_delay_alu instid0(VALU_DEP_1) | instskip(SKIP_1) | instid1(VALU_DEP_2)
	v_add3_u32 v3, v3, v5, v4
	v_mul_f32_e32 v5, s2, v18
	v_lshlrev_b64 v[2:3], 2, v[2:3]
	s_delay_alu instid0(VALU_DEP_1) | instskip(NEXT) | instid1(VALU_DEP_2)
	v_add_co_u32 v2, vcc_lo, v11, v2
	v_add_co_ci_u32_e32 v3, vcc_lo, v12, v3, vcc_lo
	global_load_b32 v4, v[2:3], off
	s_waitcnt vmcnt(0)
	v_fmac_f32_e32 v5, s24, v4
	global_store_b32 v[2:3], v5, off
.LBB93_24:                              ;   in Loop: Header=BB93_9 Depth=1
	s_cbranch_execnz .LBB93_8
	s_branch .LBB93_26
.LBB93_25:                              ;   in Loop: Header=BB93_9 Depth=1
.LBB93_26:                              ;   in Loop: Header=BB93_9 Depth=1
	v_mul_f32_e32 v2, s2, v18
	s_and_b32 vcc_lo, exec_lo, s16
	s_mov_b32 s18, -1
	s_cbranch_vccz .LBB93_28
; %bb.27:                               ;   in Loop: Header=BB93_9 Depth=1
	v_lshlrev_b64 v[3:4], 2, v[0:1]
	s_mov_b32 s18, 0
	s_delay_alu instid0(VALU_DEP_1) | instskip(NEXT) | instid1(VALU_DEP_2)
	v_add_co_u32 v3, vcc_lo, v13, v3
	v_add_co_ci_u32_e32 v4, vcc_lo, v14, v4, vcc_lo
	global_store_b32 v[3:4], v2, off
.LBB93_28:                              ;   in Loop: Header=BB93_9 Depth=1
	s_and_not1_b32 vcc_lo, exec_lo, s18
	s_cbranch_vccnz .LBB93_8
; %bb.29:                               ;   in Loop: Header=BB93_9 Depth=1
	v_mul_lo_u32 v1, v1, s14
	v_mul_lo_u32 v5, v0, s15
	v_mad_u64_u32 v[3:4], null, v0, s14, 0
	s_delay_alu instid0(VALU_DEP_1) | instskip(NEXT) | instid1(VALU_DEP_1)
	v_add3_u32 v4, v4, v5, v1
	v_lshlrev_b64 v[0:1], 2, v[3:4]
	s_delay_alu instid0(VALU_DEP_1) | instskip(NEXT) | instid1(VALU_DEP_2)
	v_add_co_u32 v0, vcc_lo, v11, v0
	v_add_co_ci_u32_e32 v1, vcc_lo, v12, v1, vcc_lo
	global_store_b32 v[0:1], v2, off
	s_branch .LBB93_8
.LBB93_30:
	s_nop 0
	s_sendmsg sendmsg(MSG_DEALLOC_VGPRS)
	s_endpgm
	.section	.rodata,"a",@progbits
	.p2align	6, 0x0
	.amdhsa_kernel _ZN9rocsparseL29bsrmmnt_small_blockdim_kernelILj64ELj8ELj2EiiaaffEEv20rocsparse_direction_T3_S2_llNS_24const_host_device_scalarIT7_EEPKT2_PKS2_PKT4_PKT5_llS5_PT6_ll16rocsparse_order_21rocsparse_index_base_b
		.amdhsa_group_segment_fixed_size 448
		.amdhsa_private_segment_fixed_size 0
		.amdhsa_kernarg_size 392
		.amdhsa_user_sgpr_count 15
		.amdhsa_user_sgpr_dispatch_ptr 0
		.amdhsa_user_sgpr_queue_ptr 0
		.amdhsa_user_sgpr_kernarg_segment_ptr 1
		.amdhsa_user_sgpr_dispatch_id 0
		.amdhsa_user_sgpr_private_segment_size 0
		.amdhsa_wavefront_size32 1
		.amdhsa_uses_dynamic_stack 0
		.amdhsa_enable_private_segment 0
		.amdhsa_system_sgpr_workgroup_id_x 1
		.amdhsa_system_sgpr_workgroup_id_y 0
		.amdhsa_system_sgpr_workgroup_id_z 0
		.amdhsa_system_sgpr_workgroup_info 0
		.amdhsa_system_vgpr_workitem_id 0
		.amdhsa_next_free_vgpr 35
		.amdhsa_next_free_sgpr 26
		.amdhsa_reserve_vcc 1
		.amdhsa_float_round_mode_32 0
		.amdhsa_float_round_mode_16_64 0
		.amdhsa_float_denorm_mode_32 3
		.amdhsa_float_denorm_mode_16_64 3
		.amdhsa_dx10_clamp 1
		.amdhsa_ieee_mode 1
		.amdhsa_fp16_overflow 0
		.amdhsa_workgroup_processor_mode 1
		.amdhsa_memory_ordered 1
		.amdhsa_forward_progress 0
		.amdhsa_shared_vgpr_count 0
		.amdhsa_exception_fp_ieee_invalid_op 0
		.amdhsa_exception_fp_denorm_src 0
		.amdhsa_exception_fp_ieee_div_zero 0
		.amdhsa_exception_fp_ieee_overflow 0
		.amdhsa_exception_fp_ieee_underflow 0
		.amdhsa_exception_fp_ieee_inexact 0
		.amdhsa_exception_int_div_zero 0
	.end_amdhsa_kernel
	.section	.text._ZN9rocsparseL29bsrmmnt_small_blockdim_kernelILj64ELj8ELj2EiiaaffEEv20rocsparse_direction_T3_S2_llNS_24const_host_device_scalarIT7_EEPKT2_PKS2_PKT4_PKT5_llS5_PT6_ll16rocsparse_order_21rocsparse_index_base_b,"axG",@progbits,_ZN9rocsparseL29bsrmmnt_small_blockdim_kernelILj64ELj8ELj2EiiaaffEEv20rocsparse_direction_T3_S2_llNS_24const_host_device_scalarIT7_EEPKT2_PKS2_PKT4_PKT5_llS5_PT6_ll16rocsparse_order_21rocsparse_index_base_b,comdat
.Lfunc_end93:
	.size	_ZN9rocsparseL29bsrmmnt_small_blockdim_kernelILj64ELj8ELj2EiiaaffEEv20rocsparse_direction_T3_S2_llNS_24const_host_device_scalarIT7_EEPKT2_PKS2_PKT4_PKT5_llS5_PT6_ll16rocsparse_order_21rocsparse_index_base_b, .Lfunc_end93-_ZN9rocsparseL29bsrmmnt_small_blockdim_kernelILj64ELj8ELj2EiiaaffEEv20rocsparse_direction_T3_S2_llNS_24const_host_device_scalarIT7_EEPKT2_PKS2_PKT4_PKT5_llS5_PT6_ll16rocsparse_order_21rocsparse_index_base_b
                                        ; -- End function
	.section	.AMDGPU.csdata,"",@progbits
; Kernel info:
; codeLenInByte = 1488
; NumSgprs: 28
; NumVgprs: 35
; ScratchSize: 0
; MemoryBound: 0
; FloatMode: 240
; IeeeMode: 1
; LDSByteSize: 448 bytes/workgroup (compile time only)
; SGPRBlocks: 3
; VGPRBlocks: 4
; NumSGPRsForWavesPerEU: 28
; NumVGPRsForWavesPerEU: 35
; Occupancy: 16
; WaveLimiterHint : 0
; COMPUTE_PGM_RSRC2:SCRATCH_EN: 0
; COMPUTE_PGM_RSRC2:USER_SGPR: 15
; COMPUTE_PGM_RSRC2:TRAP_HANDLER: 0
; COMPUTE_PGM_RSRC2:TGID_X_EN: 1
; COMPUTE_PGM_RSRC2:TGID_Y_EN: 0
; COMPUTE_PGM_RSRC2:TGID_Z_EN: 0
; COMPUTE_PGM_RSRC2:TIDIG_COMP_CNT: 0
	.section	.text._ZN9rocsparseL29bsrmmnt_small_blockdim_kernelILj64ELj16ELj2EiiaaffEEv20rocsparse_direction_T3_S2_llNS_24const_host_device_scalarIT7_EEPKT2_PKS2_PKT4_PKT5_llS5_PT6_ll16rocsparse_order_21rocsparse_index_base_b,"axG",@progbits,_ZN9rocsparseL29bsrmmnt_small_blockdim_kernelILj64ELj16ELj2EiiaaffEEv20rocsparse_direction_T3_S2_llNS_24const_host_device_scalarIT7_EEPKT2_PKS2_PKT4_PKT5_llS5_PT6_ll16rocsparse_order_21rocsparse_index_base_b,comdat
	.globl	_ZN9rocsparseL29bsrmmnt_small_blockdim_kernelILj64ELj16ELj2EiiaaffEEv20rocsparse_direction_T3_S2_llNS_24const_host_device_scalarIT7_EEPKT2_PKS2_PKT4_PKT5_llS5_PT6_ll16rocsparse_order_21rocsparse_index_base_b ; -- Begin function _ZN9rocsparseL29bsrmmnt_small_blockdim_kernelILj64ELj16ELj2EiiaaffEEv20rocsparse_direction_T3_S2_llNS_24const_host_device_scalarIT7_EEPKT2_PKS2_PKT4_PKT5_llS5_PT6_ll16rocsparse_order_21rocsparse_index_base_b
	.p2align	8
	.type	_ZN9rocsparseL29bsrmmnt_small_blockdim_kernelILj64ELj16ELj2EiiaaffEEv20rocsparse_direction_T3_S2_llNS_24const_host_device_scalarIT7_EEPKT2_PKS2_PKT4_PKT5_llS5_PT6_ll16rocsparse_order_21rocsparse_index_base_b,@function
_ZN9rocsparseL29bsrmmnt_small_blockdim_kernelILj64ELj16ELj2EiiaaffEEv20rocsparse_direction_T3_S2_llNS_24const_host_device_scalarIT7_EEPKT2_PKS2_PKT4_PKT5_llS5_PT6_ll16rocsparse_order_21rocsparse_index_base_b: ; @_ZN9rocsparseL29bsrmmnt_small_blockdim_kernelILj64ELj16ELj2EiiaaffEEv20rocsparse_direction_T3_S2_llNS_24const_host_device_scalarIT7_EEPKT2_PKS2_PKT4_PKT5_llS5_PT6_ll16rocsparse_order_21rocsparse_index_base_b
; %bb.0:
	s_clause 0x2
	s_load_b128 s[16:19], s[0:1], 0x78
	s_load_b64 s[2:3], s[0:1], 0x20
	s_load_b64 s[24:25], s[0:1], 0x58
	s_waitcnt lgkmcnt(0)
	s_bitcmp1_b32 s18, 0
	s_cselect_b32 s4, -1, 0
	s_delay_alu instid0(SALU_CYCLE_1)
	s_and_b32 vcc_lo, exec_lo, s4
	s_xor_b32 s4, s4, -1
	s_cbranch_vccnz .LBB94_2
; %bb.1:
	s_load_b32 s2, s[2:3], 0x0
.LBB94_2:
	s_and_not1_b32 vcc_lo, exec_lo, s4
	s_cbranch_vccnz .LBB94_4
; %bb.3:
	s_load_b32 s24, s[24:25], 0x0
.LBB94_4:
	s_waitcnt lgkmcnt(0)
	v_cmp_eq_f32_e64 s3, s2, 0
	v_cmp_eq_f32_e64 s4, s24, 1.0
	s_delay_alu instid0(VALU_DEP_1) | instskip(NEXT) | instid1(SALU_CYCLE_1)
	s_and_b32 s3, s3, s4
	s_and_b32 vcc_lo, exec_lo, s3
	s_cbranch_vccnz .LBB94_30
; %bb.5:
	s_clause 0x1
	s_load_b32 s3, s[0:1], 0x94
	s_load_b128 s[20:23], s[0:1], 0x0
	s_waitcnt lgkmcnt(0)
	s_and_b32 s3, s3, 0xffff
	s_delay_alu instid0(SALU_CYCLE_1) | instskip(SKIP_1) | instid1(VALU_DEP_1)
	v_mad_u64_u32 v[1:2], null, s15, s3, v[0:1]
	s_mov_b32 s3, exec_lo
	v_lshrrev_b32_e32 v2, 5, v1
	s_delay_alu instid0(VALU_DEP_1)
	v_cmpx_gt_i32_e64 s21, v2
	s_cbranch_execz .LBB94_30
; %bb.6:
	s_cmp_lt_i32 s22, 1
	s_cbranch_scc1 .LBB94_30
; %bb.7:
	s_load_b256 s[4:11], s[0:1], 0x28
	v_lshlrev_b32_e32 v2, 2, v2
	s_load_b128 s[12:15], s[0:1], 0x60
	v_lshrrev_b32_e32 v9, 4, v1
	v_and_b32_e32 v6, 15, v0
	v_bfe_u32 v17, v1, 4, 1
	v_lshrrev_b32_e32 v7, 4, v0
	s_cmp_lg_u32 s16, 1
	v_lshlrev_b32_e32 v11, 2, v9
	s_cselect_b32 s16, -1, 0
	s_cmp_eq_u32 s20, 0
	v_cmp_neq_f32_e64 s3, s24, 0
	s_waitcnt lgkmcnt(0)
	global_load_b64 v[2:3], v2, s[4:5]
	s_load_b64 s[4:5], s[0:1], 0x48
	v_mad_u64_u32 v[4:5], null, v9, s14, 0
	s_cselect_b32 s1, -1, 0
	v_add_co_u32 v11, s0, s12, v11
	v_cndmask_b32_e64 v18, 0, 1, s1
	v_add_co_ci_u32_e64 v12, null, s13, 0, s0
	s_delay_alu instid0(VALU_DEP_4) | instskip(SKIP_4) | instid1(VALU_DEP_3)
	v_mad_u64_u32 v[0:1], null, v9, s15, v[5:6]
	v_mul_u32_u24_e32 v1, 48, v7
	v_lshlrev_b32_e32 v7, 6, v7
	v_lshlrev_b32_e32 v17, v18, v17
	s_and_b32 s1, s1, exec_lo
	v_or_b32_e32 v8, 0x100, v1
	v_mov_b32_e32 v5, v0
	v_lshl_or_b32 v9, v6, 2, v7
	s_delay_alu instid0(VALU_DEP_3) | instskip(NEXT) | instid1(VALU_DEP_3)
	v_mad_u32_u24 v10, v6, 3, v8
	v_lshlrev_b64 v[0:1], 2, v[4:5]
	s_delay_alu instid0(VALU_DEP_1) | instskip(NEXT) | instid1(VALU_DEP_2)
	v_add_co_u32 v13, vcc_lo, s12, v0
	v_add_co_ci_u32_e32 v14, vcc_lo, s13, v1, vcc_lo
	s_mov_b32 s12, 0
	s_cselect_b32 s13, 1, 2
	s_waitcnt vmcnt(0)
	v_subrev_nc_u32_e32 v15, s17, v2
	v_subrev_nc_u32_e32 v16, s17, v3
	v_cmp_lt_i32_e64 s0, v2, v3
	s_branch .LBB94_9
.LBB94_8:                               ;   in Loop: Header=BB94_9 Depth=1
	s_or_b32 exec_lo, exec_lo, s1
	s_add_i32 s12, s12, 16
	s_delay_alu instid0(SALU_CYCLE_1)
	s_cmp_lt_i32 s12, s22
	s_cbranch_scc0 .LBB94_30
.LBB94_9:                               ; =>This Loop Header: Depth=1
                                        ;     Child Loop BB94_12 Depth 2
                                        ;       Child Loop BB94_16 Depth 3
	v_or_b32_e32 v0, s12, v6
	v_mov_b32_e32 v18, 0
	s_delay_alu instid0(VALU_DEP_2)
	v_ashrrev_i32_e32 v1, 31, v0
	s_and_saveexec_b32 s18, s0
	s_cbranch_execz .LBB94_18
; %bb.10:                               ;   in Loop: Header=BB94_9 Depth=1
	v_add_co_u32 v2, s1, s10, v0
	v_cmp_gt_i32_e32 vcc_lo, s22, v0
	v_add_co_ci_u32_e64 v3, s1, s11, v1, s1
	v_dual_mov_b32 v18, 0 :: v_dual_mov_b32 v19, v15
	s_mov_b32 s19, 0
	s_branch .LBB94_12
.LBB94_11:                              ;   in Loop: Header=BB94_12 Depth=2
	s_or_b32 exec_lo, exec_lo, s1
	v_add_nc_u32_e32 v19, 16, v19
	s_delay_alu instid0(VALU_DEP_1) | instskip(NEXT) | instid1(VALU_DEP_1)
	v_cmp_ge_i32_e64 s1, v19, v16
	s_or_b32 s19, s1, s19
	s_delay_alu instid0(SALU_CYCLE_1)
	s_and_not1_b32 exec_lo, exec_lo, s19
	s_cbranch_execz .LBB94_17
.LBB94_12:                              ;   Parent Loop BB94_9 Depth=1
                                        ; =>  This Loop Header: Depth=2
                                        ;       Child Loop BB94_16 Depth 3
	s_delay_alu instid0(VALU_DEP_1) | instskip(SKIP_2) | instid1(VALU_DEP_2)
	v_dual_mov_b32 v5, 0 :: v_dual_add_nc_u32 v4, v19, v6
	v_dual_mov_b32 v20, 0 :: v_dual_mov_b32 v21, 0
	s_mov_b32 s20, exec_lo
	v_cmpx_lt_i32_e64 v4, v16
	s_cbranch_execz .LBB94_14
; %bb.13:                               ;   in Loop: Header=BB94_12 Depth=2
	v_ashrrev_i32_e32 v5, 31, v4
	s_delay_alu instid0(VALU_DEP_1) | instskip(SKIP_1) | instid1(VALU_DEP_1)
	v_lshlrev_b64 v[20:21], 2, v[4:5]
	v_lshl_or_b32 v4, v4, 2, v17
	v_or_b32_e32 v5, s13, v4
	s_delay_alu instid0(VALU_DEP_3) | instskip(NEXT) | instid1(VALU_DEP_1)
	v_add_co_u32 v20, s1, s6, v20
	v_add_co_ci_u32_e64 v21, s1, s7, v21, s1
	global_load_b32 v20, v[20:21], off
	s_clause 0x1
	global_load_i8 v21, v5, s[8:9]
	global_load_u8 v5, v4, s[8:9]
	s_waitcnt vmcnt(1)
	v_cvt_f32_i32_e32 v21, v21
	v_subrev_nc_u32_e32 v4, s17, v20
	s_delay_alu instid0(VALU_DEP_1)
	v_lshlrev_b32_e32 v20, 1, v4
.LBB94_14:                              ;   in Loop: Header=BB94_12 Depth=2
	s_or_b32 exec_lo, exec_lo, s20
	s_delay_alu instid0(VALU_DEP_2)
	v_cvt_i32_f32_e32 v4, v21
	ds_store_b32 v9, v20
	s_waitcnt vmcnt(0)
	ds_store_b8 v10, v5
	ds_store_b8 v10, v4 offset:1
	s_waitcnt lgkmcnt(0)
	s_waitcnt_vscnt null, 0x0
	s_barrier
	buffer_gl0_inv
	s_and_saveexec_b32 s1, vcc_lo
	s_cbranch_execz .LBB94_11
; %bb.15:                               ;   in Loop: Header=BB94_12 Depth=2
	v_mov_b32_e32 v4, v8
	s_mov_b32 s20, 0
.LBB94_16:                              ;   Parent Loop BB94_9 Depth=1
                                        ;     Parent Loop BB94_12 Depth=2
                                        ; =>    This Inner Loop Header: Depth=3
	s_delay_alu instid0(SALU_CYCLE_1) | instskip(SKIP_1) | instid1(SALU_CYCLE_1)
	v_add_nc_u32_e32 v5, s20, v7
	s_add_i32 s20, s20, 8
	s_cmp_lg_u32 s20, 64
	ds_load_b64 v[20:21], v5
	s_waitcnt lgkmcnt(0)
	v_add_nc_u32_e32 v27, 1, v20
	v_ashrrev_i32_e32 v5, 31, v20
	v_mul_lo_u32 v26, v20, s5
	v_mad_u64_u32 v[22:23], null, v20, s4, v[2:3]
	s_delay_alu instid0(VALU_DEP_4)
	v_ashrrev_i32_e32 v31, 31, v27
	v_ashrrev_i32_e32 v28, 31, v21
	v_mul_lo_u32 v29, v21, s5
	v_mad_u64_u32 v[24:25], null, v21, s4, v[2:3]
	v_add_nc_u32_e32 v30, 1, v21
	v_mul_lo_u32 v5, v5, s4
	v_mul_lo_u32 v32, v27, s5
	v_mad_u64_u32 v[20:21], null, v27, s4, v[2:3]
	v_mul_lo_u32 v31, v31, s4
	v_ashrrev_i32_e32 v33, 31, v30
	v_mul_lo_u32 v28, v28, s4
	v_mul_lo_u32 v34, v30, s5
	v_add3_u32 v23, v5, v23, v26
	v_mad_u64_u32 v[26:27], null, v30, s4, v[2:3]
	v_add3_u32 v21, v31, v21, v32
	global_load_i8 v5, v[22:23], off
	v_add3_u32 v25, v28, v25, v29
	global_load_i8 v20, v[20:21], off
	v_mul_lo_u32 v22, v33, s4
	s_delay_alu instid0(VALU_DEP_1)
	v_add3_u32 v27, v22, v27, v34
	s_clause 0x1
	global_load_i8 v21, v[24:25], off
	global_load_i8 v22, v[26:27], off
	ds_load_u16 v23, v4
	ds_load_i8 v24, v4 offset:3
	ds_load_i8 v25, v4 offset:4
	v_add_nc_u32_e32 v4, 6, v4
	s_waitcnt lgkmcnt(2)
	v_bfe_i32 v26, v23, 0, 8
	v_ashrrev_i16 v23, 8, v23
	s_delay_alu instid0(VALU_DEP_2) | instskip(NEXT) | instid1(VALU_DEP_2)
	v_bfe_i32 v26, v26, 0, 16
	v_bfe_i32 v23, v23, 0, 16
	s_delay_alu instid0(VALU_DEP_2) | instskip(NEXT) | instid1(VALU_DEP_2)
	v_cvt_f32_i32_e32 v26, v26
	v_cvt_f32_i32_e32 v23, v23
	s_waitcnt vmcnt(3)
	v_cvt_f32_i32_e32 v5, v5
	s_delay_alu instid0(VALU_DEP_1) | instskip(SKIP_4) | instid1(VALU_DEP_2)
	v_fmac_f32_e32 v18, v26, v5
	s_waitcnt vmcnt(2)
	v_cvt_f32_i32_e32 v5, v20
	s_waitcnt lgkmcnt(1)
	v_cvt_f32_i32_e32 v20, v24
	v_fmac_f32_e32 v18, v23, v5
	s_waitcnt lgkmcnt(0)
	v_cvt_f32_i32_e32 v5, v25
	s_waitcnt vmcnt(1)
	v_cvt_f32_i32_e32 v21, v21
	s_waitcnt vmcnt(0)
	v_cvt_f32_i32_e32 v22, v22
	s_delay_alu instid0(VALU_DEP_2) | instskip(NEXT) | instid1(VALU_DEP_1)
	v_fmac_f32_e32 v18, v20, v21
	v_fmac_f32_e32 v18, v5, v22
	s_cbranch_scc1 .LBB94_16
	s_branch .LBB94_11
.LBB94_17:                              ;   in Loop: Header=BB94_9 Depth=1
	s_or_b32 exec_lo, exec_lo, s19
.LBB94_18:                              ;   in Loop: Header=BB94_9 Depth=1
	s_delay_alu instid0(SALU_CYCLE_1) | instskip(NEXT) | instid1(SALU_CYCLE_1)
	s_or_b32 exec_lo, exec_lo, s18
	s_mov_b32 s1, exec_lo
	v_cmpx_gt_i32_e64 s22, v0
	s_cbranch_execz .LBB94_8
; %bb.19:                               ;   in Loop: Header=BB94_9 Depth=1
	s_and_b32 vcc_lo, exec_lo, s3
	s_cbranch_vccz .LBB94_25
; %bb.20:                               ;   in Loop: Header=BB94_9 Depth=1
	s_and_b32 vcc_lo, exec_lo, s16
	s_mov_b32 s18, -1
	s_cbranch_vccz .LBB94_22
; %bb.21:                               ;   in Loop: Header=BB94_9 Depth=1
	v_lshlrev_b64 v[2:3], 2, v[0:1]
	v_mul_f32_e32 v5, s2, v18
	s_mov_b32 s18, 0
	s_delay_alu instid0(VALU_DEP_2) | instskip(NEXT) | instid1(VALU_DEP_3)
	v_add_co_u32 v2, vcc_lo, v13, v2
	v_add_co_ci_u32_e32 v3, vcc_lo, v14, v3, vcc_lo
	global_load_b32 v4, v[2:3], off
	s_waitcnt vmcnt(0)
	v_fmac_f32_e32 v5, s24, v4
	global_store_b32 v[2:3], v5, off
.LBB94_22:                              ;   in Loop: Header=BB94_9 Depth=1
	s_and_not1_b32 vcc_lo, exec_lo, s18
	s_cbranch_vccnz .LBB94_24
; %bb.23:                               ;   in Loop: Header=BB94_9 Depth=1
	v_mul_lo_u32 v4, v1, s14
	v_mul_lo_u32 v5, v0, s15
	v_mad_u64_u32 v[2:3], null, v0, s14, 0
	s_delay_alu instid0(VALU_DEP_1) | instskip(SKIP_1) | instid1(VALU_DEP_2)
	v_add3_u32 v3, v3, v5, v4
	v_mul_f32_e32 v5, s2, v18
	v_lshlrev_b64 v[2:3], 2, v[2:3]
	s_delay_alu instid0(VALU_DEP_1) | instskip(NEXT) | instid1(VALU_DEP_2)
	v_add_co_u32 v2, vcc_lo, v11, v2
	v_add_co_ci_u32_e32 v3, vcc_lo, v12, v3, vcc_lo
	global_load_b32 v4, v[2:3], off
	s_waitcnt vmcnt(0)
	v_fmac_f32_e32 v5, s24, v4
	global_store_b32 v[2:3], v5, off
.LBB94_24:                              ;   in Loop: Header=BB94_9 Depth=1
	s_cbranch_execnz .LBB94_8
	s_branch .LBB94_26
.LBB94_25:                              ;   in Loop: Header=BB94_9 Depth=1
.LBB94_26:                              ;   in Loop: Header=BB94_9 Depth=1
	v_mul_f32_e32 v2, s2, v18
	s_and_b32 vcc_lo, exec_lo, s16
	s_mov_b32 s18, -1
	s_cbranch_vccz .LBB94_28
; %bb.27:                               ;   in Loop: Header=BB94_9 Depth=1
	v_lshlrev_b64 v[3:4], 2, v[0:1]
	s_mov_b32 s18, 0
	s_delay_alu instid0(VALU_DEP_1) | instskip(NEXT) | instid1(VALU_DEP_2)
	v_add_co_u32 v3, vcc_lo, v13, v3
	v_add_co_ci_u32_e32 v4, vcc_lo, v14, v4, vcc_lo
	global_store_b32 v[3:4], v2, off
.LBB94_28:                              ;   in Loop: Header=BB94_9 Depth=1
	s_and_not1_b32 vcc_lo, exec_lo, s18
	s_cbranch_vccnz .LBB94_8
; %bb.29:                               ;   in Loop: Header=BB94_9 Depth=1
	v_mul_lo_u32 v1, v1, s14
	v_mul_lo_u32 v5, v0, s15
	v_mad_u64_u32 v[3:4], null, v0, s14, 0
	s_delay_alu instid0(VALU_DEP_1) | instskip(NEXT) | instid1(VALU_DEP_1)
	v_add3_u32 v4, v4, v5, v1
	v_lshlrev_b64 v[0:1], 2, v[3:4]
	s_delay_alu instid0(VALU_DEP_1) | instskip(NEXT) | instid1(VALU_DEP_2)
	v_add_co_u32 v0, vcc_lo, v11, v0
	v_add_co_ci_u32_e32 v1, vcc_lo, v12, v1, vcc_lo
	global_store_b32 v[0:1], v2, off
	s_branch .LBB94_8
.LBB94_30:
	s_nop 0
	s_sendmsg sendmsg(MSG_DEALLOC_VGPRS)
	s_endpgm
	.section	.rodata,"a",@progbits
	.p2align	6, 0x0
	.amdhsa_kernel _ZN9rocsparseL29bsrmmnt_small_blockdim_kernelILj64ELj16ELj2EiiaaffEEv20rocsparse_direction_T3_S2_llNS_24const_host_device_scalarIT7_EEPKT2_PKS2_PKT4_PKT5_llS5_PT6_ll16rocsparse_order_21rocsparse_index_base_b
		.amdhsa_group_segment_fixed_size 448
		.amdhsa_private_segment_fixed_size 0
		.amdhsa_kernarg_size 392
		.amdhsa_user_sgpr_count 15
		.amdhsa_user_sgpr_dispatch_ptr 0
		.amdhsa_user_sgpr_queue_ptr 0
		.amdhsa_user_sgpr_kernarg_segment_ptr 1
		.amdhsa_user_sgpr_dispatch_id 0
		.amdhsa_user_sgpr_private_segment_size 0
		.amdhsa_wavefront_size32 1
		.amdhsa_uses_dynamic_stack 0
		.amdhsa_enable_private_segment 0
		.amdhsa_system_sgpr_workgroup_id_x 1
		.amdhsa_system_sgpr_workgroup_id_y 0
		.amdhsa_system_sgpr_workgroup_id_z 0
		.amdhsa_system_sgpr_workgroup_info 0
		.amdhsa_system_vgpr_workitem_id 0
		.amdhsa_next_free_vgpr 35
		.amdhsa_next_free_sgpr 26
		.amdhsa_reserve_vcc 1
		.amdhsa_float_round_mode_32 0
		.amdhsa_float_round_mode_16_64 0
		.amdhsa_float_denorm_mode_32 3
		.amdhsa_float_denorm_mode_16_64 3
		.amdhsa_dx10_clamp 1
		.amdhsa_ieee_mode 1
		.amdhsa_fp16_overflow 0
		.amdhsa_workgroup_processor_mode 1
		.amdhsa_memory_ordered 1
		.amdhsa_forward_progress 0
		.amdhsa_shared_vgpr_count 0
		.amdhsa_exception_fp_ieee_invalid_op 0
		.amdhsa_exception_fp_denorm_src 0
		.amdhsa_exception_fp_ieee_div_zero 0
		.amdhsa_exception_fp_ieee_overflow 0
		.amdhsa_exception_fp_ieee_underflow 0
		.amdhsa_exception_fp_ieee_inexact 0
		.amdhsa_exception_int_div_zero 0
	.end_amdhsa_kernel
	.section	.text._ZN9rocsparseL29bsrmmnt_small_blockdim_kernelILj64ELj16ELj2EiiaaffEEv20rocsparse_direction_T3_S2_llNS_24const_host_device_scalarIT7_EEPKT2_PKS2_PKT4_PKT5_llS5_PT6_ll16rocsparse_order_21rocsparse_index_base_b,"axG",@progbits,_ZN9rocsparseL29bsrmmnt_small_blockdim_kernelILj64ELj16ELj2EiiaaffEEv20rocsparse_direction_T3_S2_llNS_24const_host_device_scalarIT7_EEPKT2_PKS2_PKT4_PKT5_llS5_PT6_ll16rocsparse_order_21rocsparse_index_base_b,comdat
.Lfunc_end94:
	.size	_ZN9rocsparseL29bsrmmnt_small_blockdim_kernelILj64ELj16ELj2EiiaaffEEv20rocsparse_direction_T3_S2_llNS_24const_host_device_scalarIT7_EEPKT2_PKS2_PKT4_PKT5_llS5_PT6_ll16rocsparse_order_21rocsparse_index_base_b, .Lfunc_end94-_ZN9rocsparseL29bsrmmnt_small_blockdim_kernelILj64ELj16ELj2EiiaaffEEv20rocsparse_direction_T3_S2_llNS_24const_host_device_scalarIT7_EEPKT2_PKS2_PKT4_PKT5_llS5_PT6_ll16rocsparse_order_21rocsparse_index_base_b
                                        ; -- End function
	.section	.AMDGPU.csdata,"",@progbits
; Kernel info:
; codeLenInByte = 1488
; NumSgprs: 28
; NumVgprs: 35
; ScratchSize: 0
; MemoryBound: 0
; FloatMode: 240
; IeeeMode: 1
; LDSByteSize: 448 bytes/workgroup (compile time only)
; SGPRBlocks: 3
; VGPRBlocks: 4
; NumSGPRsForWavesPerEU: 28
; NumVGPRsForWavesPerEU: 35
; Occupancy: 16
; WaveLimiterHint : 0
; COMPUTE_PGM_RSRC2:SCRATCH_EN: 0
; COMPUTE_PGM_RSRC2:USER_SGPR: 15
; COMPUTE_PGM_RSRC2:TRAP_HANDLER: 0
; COMPUTE_PGM_RSRC2:TGID_X_EN: 1
; COMPUTE_PGM_RSRC2:TGID_Y_EN: 0
; COMPUTE_PGM_RSRC2:TGID_Z_EN: 0
; COMPUTE_PGM_RSRC2:TIDIG_COMP_CNT: 0
	.section	.text._ZN9rocsparseL29bsrmmnt_small_blockdim_kernelILj64ELj32ELj2EiiaaffEEv20rocsparse_direction_T3_S2_llNS_24const_host_device_scalarIT7_EEPKT2_PKS2_PKT4_PKT5_llS5_PT6_ll16rocsparse_order_21rocsparse_index_base_b,"axG",@progbits,_ZN9rocsparseL29bsrmmnt_small_blockdim_kernelILj64ELj32ELj2EiiaaffEEv20rocsparse_direction_T3_S2_llNS_24const_host_device_scalarIT7_EEPKT2_PKS2_PKT4_PKT5_llS5_PT6_ll16rocsparse_order_21rocsparse_index_base_b,comdat
	.globl	_ZN9rocsparseL29bsrmmnt_small_blockdim_kernelILj64ELj32ELj2EiiaaffEEv20rocsparse_direction_T3_S2_llNS_24const_host_device_scalarIT7_EEPKT2_PKS2_PKT4_PKT5_llS5_PT6_ll16rocsparse_order_21rocsparse_index_base_b ; -- Begin function _ZN9rocsparseL29bsrmmnt_small_blockdim_kernelILj64ELj32ELj2EiiaaffEEv20rocsparse_direction_T3_S2_llNS_24const_host_device_scalarIT7_EEPKT2_PKS2_PKT4_PKT5_llS5_PT6_ll16rocsparse_order_21rocsparse_index_base_b
	.p2align	8
	.type	_ZN9rocsparseL29bsrmmnt_small_blockdim_kernelILj64ELj32ELj2EiiaaffEEv20rocsparse_direction_T3_S2_llNS_24const_host_device_scalarIT7_EEPKT2_PKS2_PKT4_PKT5_llS5_PT6_ll16rocsparse_order_21rocsparse_index_base_b,@function
_ZN9rocsparseL29bsrmmnt_small_blockdim_kernelILj64ELj32ELj2EiiaaffEEv20rocsparse_direction_T3_S2_llNS_24const_host_device_scalarIT7_EEPKT2_PKS2_PKT4_PKT5_llS5_PT6_ll16rocsparse_order_21rocsparse_index_base_b: ; @_ZN9rocsparseL29bsrmmnt_small_blockdim_kernelILj64ELj32ELj2EiiaaffEEv20rocsparse_direction_T3_S2_llNS_24const_host_device_scalarIT7_EEPKT2_PKS2_PKT4_PKT5_llS5_PT6_ll16rocsparse_order_21rocsparse_index_base_b
; %bb.0:
	s_clause 0x2
	s_load_b128 s[16:19], s[0:1], 0x78
	s_load_b64 s[2:3], s[0:1], 0x20
	s_load_b64 s[24:25], s[0:1], 0x58
	s_waitcnt lgkmcnt(0)
	s_bitcmp1_b32 s18, 0
	s_cselect_b32 s4, -1, 0
	s_delay_alu instid0(SALU_CYCLE_1)
	s_and_b32 vcc_lo, exec_lo, s4
	s_xor_b32 s4, s4, -1
	s_cbranch_vccnz .LBB95_2
; %bb.1:
	s_load_b32 s2, s[2:3], 0x0
.LBB95_2:
	s_and_not1_b32 vcc_lo, exec_lo, s4
	s_cbranch_vccnz .LBB95_4
; %bb.3:
	s_load_b32 s24, s[24:25], 0x0
.LBB95_4:
	s_waitcnt lgkmcnt(0)
	v_cmp_eq_f32_e64 s3, s2, 0
	v_cmp_eq_f32_e64 s4, s24, 1.0
	s_delay_alu instid0(VALU_DEP_1) | instskip(NEXT) | instid1(SALU_CYCLE_1)
	s_and_b32 s3, s3, s4
	s_and_b32 vcc_lo, exec_lo, s3
	s_cbranch_vccnz .LBB95_30
; %bb.5:
	s_clause 0x1
	s_load_b32 s3, s[0:1], 0x94
	s_load_b128 s[20:23], s[0:1], 0x0
	s_waitcnt lgkmcnt(0)
	s_and_b32 s3, s3, 0xffff
	s_delay_alu instid0(SALU_CYCLE_1) | instskip(SKIP_1) | instid1(VALU_DEP_1)
	v_mad_u64_u32 v[1:2], null, s15, s3, v[0:1]
	s_mov_b32 s3, exec_lo
	v_lshrrev_b32_e32 v2, 6, v1
	s_delay_alu instid0(VALU_DEP_1)
	v_cmpx_gt_i32_e64 s21, v2
	s_cbranch_execz .LBB95_30
; %bb.6:
	s_cmp_lt_i32 s22, 1
	s_cbranch_scc1 .LBB95_30
; %bb.7:
	s_load_b256 s[4:11], s[0:1], 0x28
	v_lshlrev_b32_e32 v2, 2, v2
	s_load_b128 s[12:15], s[0:1], 0x60
	v_lshrrev_b32_e32 v9, 5, v1
	v_and_b32_e32 v6, 31, v0
	v_bfe_u32 v17, v1, 5, 1
	v_lshrrev_b32_e32 v7, 5, v0
	s_cmp_lg_u32 s16, 1
	v_lshlrev_b32_e32 v11, 2, v9
	s_cselect_b32 s16, -1, 0
	s_cmp_eq_u32 s20, 0
	v_cmp_neq_f32_e64 s3, s24, 0
	s_waitcnt lgkmcnt(0)
	global_load_b64 v[2:3], v2, s[4:5]
	s_load_b64 s[4:5], s[0:1], 0x48
	v_mad_u64_u32 v[4:5], null, v9, s14, 0
	s_cselect_b32 s1, -1, 0
	v_add_co_u32 v11, s0, s12, v11
	v_cndmask_b32_e64 v18, 0, 1, s1
	v_add_co_ci_u32_e64 v12, null, s13, 0, s0
	s_delay_alu instid0(VALU_DEP_4) | instskip(SKIP_4) | instid1(VALU_DEP_3)
	v_mad_u64_u32 v[0:1], null, v9, s15, v[5:6]
	v_mul_u32_u24_e32 v1, 0x60, v7
	v_lshlrev_b32_e32 v7, 7, v7
	v_lshlrev_b32_e32 v17, v18, v17
	s_and_b32 s1, s1, exec_lo
	v_or_b32_e32 v8, 0x100, v1
	v_mov_b32_e32 v5, v0
	v_lshl_or_b32 v9, v6, 2, v7
	s_delay_alu instid0(VALU_DEP_3) | instskip(NEXT) | instid1(VALU_DEP_3)
	v_mad_u32_u24 v10, v6, 3, v8
	v_lshlrev_b64 v[0:1], 2, v[4:5]
	s_delay_alu instid0(VALU_DEP_1) | instskip(NEXT) | instid1(VALU_DEP_2)
	v_add_co_u32 v13, vcc_lo, s12, v0
	v_add_co_ci_u32_e32 v14, vcc_lo, s13, v1, vcc_lo
	s_mov_b32 s12, 0
	s_cselect_b32 s13, 1, 2
	s_waitcnt vmcnt(0)
	v_subrev_nc_u32_e32 v15, s17, v2
	v_subrev_nc_u32_e32 v16, s17, v3
	v_cmp_lt_i32_e64 s0, v2, v3
	s_branch .LBB95_9
.LBB95_8:                               ;   in Loop: Header=BB95_9 Depth=1
	s_or_b32 exec_lo, exec_lo, s1
	s_add_i32 s12, s12, 32
	s_delay_alu instid0(SALU_CYCLE_1)
	s_cmp_lt_i32 s12, s22
	s_cbranch_scc0 .LBB95_30
.LBB95_9:                               ; =>This Loop Header: Depth=1
                                        ;     Child Loop BB95_12 Depth 2
                                        ;       Child Loop BB95_16 Depth 3
	v_or_b32_e32 v0, s12, v6
	v_mov_b32_e32 v18, 0
	s_delay_alu instid0(VALU_DEP_2)
	v_ashrrev_i32_e32 v1, 31, v0
	s_and_saveexec_b32 s18, s0
	s_cbranch_execz .LBB95_18
; %bb.10:                               ;   in Loop: Header=BB95_9 Depth=1
	v_add_co_u32 v2, s1, s10, v0
	v_cmp_gt_i32_e32 vcc_lo, s22, v0
	v_add_co_ci_u32_e64 v3, s1, s11, v1, s1
	v_dual_mov_b32 v18, 0 :: v_dual_mov_b32 v19, v15
	s_mov_b32 s19, 0
	s_branch .LBB95_12
.LBB95_11:                              ;   in Loop: Header=BB95_12 Depth=2
	s_or_b32 exec_lo, exec_lo, s1
	v_add_nc_u32_e32 v19, 32, v19
	s_delay_alu instid0(VALU_DEP_1) | instskip(NEXT) | instid1(VALU_DEP_1)
	v_cmp_ge_i32_e64 s1, v19, v16
	s_or_b32 s19, s1, s19
	s_delay_alu instid0(SALU_CYCLE_1)
	s_and_not1_b32 exec_lo, exec_lo, s19
	s_cbranch_execz .LBB95_17
.LBB95_12:                              ;   Parent Loop BB95_9 Depth=1
                                        ; =>  This Loop Header: Depth=2
                                        ;       Child Loop BB95_16 Depth 3
	s_delay_alu instid0(VALU_DEP_1) | instskip(SKIP_2) | instid1(VALU_DEP_2)
	v_dual_mov_b32 v5, 0 :: v_dual_add_nc_u32 v4, v19, v6
	v_dual_mov_b32 v20, 0 :: v_dual_mov_b32 v21, 0
	s_mov_b32 s20, exec_lo
	v_cmpx_lt_i32_e64 v4, v16
	s_cbranch_execz .LBB95_14
; %bb.13:                               ;   in Loop: Header=BB95_12 Depth=2
	v_ashrrev_i32_e32 v5, 31, v4
	s_delay_alu instid0(VALU_DEP_1) | instskip(SKIP_1) | instid1(VALU_DEP_1)
	v_lshlrev_b64 v[20:21], 2, v[4:5]
	v_lshl_or_b32 v4, v4, 2, v17
	v_or_b32_e32 v5, s13, v4
	s_delay_alu instid0(VALU_DEP_3) | instskip(NEXT) | instid1(VALU_DEP_1)
	v_add_co_u32 v20, s1, s6, v20
	v_add_co_ci_u32_e64 v21, s1, s7, v21, s1
	global_load_b32 v20, v[20:21], off
	s_clause 0x1
	global_load_i8 v21, v5, s[8:9]
	global_load_u8 v5, v4, s[8:9]
	s_waitcnt vmcnt(1)
	v_cvt_f32_i32_e32 v21, v21
	v_subrev_nc_u32_e32 v4, s17, v20
	s_delay_alu instid0(VALU_DEP_1)
	v_lshlrev_b32_e32 v20, 1, v4
.LBB95_14:                              ;   in Loop: Header=BB95_12 Depth=2
	s_or_b32 exec_lo, exec_lo, s20
	s_delay_alu instid0(VALU_DEP_2)
	v_cvt_i32_f32_e32 v4, v21
	ds_store_b32 v9, v20
	s_waitcnt vmcnt(0)
	ds_store_b8 v10, v5
	ds_store_b8 v10, v4 offset:1
	s_waitcnt lgkmcnt(0)
	s_waitcnt_vscnt null, 0x0
	s_barrier
	buffer_gl0_inv
	s_and_saveexec_b32 s1, vcc_lo
	s_cbranch_execz .LBB95_11
; %bb.15:                               ;   in Loop: Header=BB95_12 Depth=2
	v_mov_b32_e32 v4, v8
	s_mov_b32 s20, 0
.LBB95_16:                              ;   Parent Loop BB95_9 Depth=1
                                        ;     Parent Loop BB95_12 Depth=2
                                        ; =>    This Inner Loop Header: Depth=3
	s_delay_alu instid0(SALU_CYCLE_1) | instskip(SKIP_1) | instid1(SALU_CYCLE_1)
	v_add_nc_u32_e32 v5, s20, v7
	s_add_i32 s20, s20, 8
	s_cmpk_lg_i32 s20, 0x80
	ds_load_b64 v[20:21], v5
	s_waitcnt lgkmcnt(0)
	v_add_nc_u32_e32 v27, 1, v20
	v_ashrrev_i32_e32 v5, 31, v20
	v_mul_lo_u32 v26, v20, s5
	v_mad_u64_u32 v[22:23], null, v20, s4, v[2:3]
	s_delay_alu instid0(VALU_DEP_4)
	v_ashrrev_i32_e32 v31, 31, v27
	v_ashrrev_i32_e32 v28, 31, v21
	v_mul_lo_u32 v29, v21, s5
	v_mad_u64_u32 v[24:25], null, v21, s4, v[2:3]
	v_add_nc_u32_e32 v30, 1, v21
	v_mul_lo_u32 v5, v5, s4
	v_mul_lo_u32 v32, v27, s5
	v_mad_u64_u32 v[20:21], null, v27, s4, v[2:3]
	v_mul_lo_u32 v31, v31, s4
	v_ashrrev_i32_e32 v33, 31, v30
	v_mul_lo_u32 v28, v28, s4
	v_mul_lo_u32 v34, v30, s5
	v_add3_u32 v23, v5, v23, v26
	v_mad_u64_u32 v[26:27], null, v30, s4, v[2:3]
	v_add3_u32 v21, v31, v21, v32
	global_load_i8 v5, v[22:23], off
	v_add3_u32 v25, v28, v25, v29
	global_load_i8 v20, v[20:21], off
	v_mul_lo_u32 v22, v33, s4
	s_delay_alu instid0(VALU_DEP_1)
	v_add3_u32 v27, v22, v27, v34
	s_clause 0x1
	global_load_i8 v21, v[24:25], off
	global_load_i8 v22, v[26:27], off
	ds_load_u16 v23, v4
	ds_load_i8 v24, v4 offset:3
	ds_load_i8 v25, v4 offset:4
	v_add_nc_u32_e32 v4, 6, v4
	s_waitcnt lgkmcnt(2)
	v_bfe_i32 v26, v23, 0, 8
	v_ashrrev_i16 v23, 8, v23
	s_delay_alu instid0(VALU_DEP_2) | instskip(NEXT) | instid1(VALU_DEP_2)
	v_bfe_i32 v26, v26, 0, 16
	v_bfe_i32 v23, v23, 0, 16
	s_delay_alu instid0(VALU_DEP_2) | instskip(NEXT) | instid1(VALU_DEP_2)
	v_cvt_f32_i32_e32 v26, v26
	v_cvt_f32_i32_e32 v23, v23
	s_waitcnt vmcnt(3)
	v_cvt_f32_i32_e32 v5, v5
	s_delay_alu instid0(VALU_DEP_1) | instskip(SKIP_4) | instid1(VALU_DEP_2)
	v_fmac_f32_e32 v18, v26, v5
	s_waitcnt vmcnt(2)
	v_cvt_f32_i32_e32 v5, v20
	s_waitcnt lgkmcnt(1)
	v_cvt_f32_i32_e32 v20, v24
	v_fmac_f32_e32 v18, v23, v5
	s_waitcnt lgkmcnt(0)
	v_cvt_f32_i32_e32 v5, v25
	s_waitcnt vmcnt(1)
	v_cvt_f32_i32_e32 v21, v21
	s_waitcnt vmcnt(0)
	v_cvt_f32_i32_e32 v22, v22
	s_delay_alu instid0(VALU_DEP_2) | instskip(NEXT) | instid1(VALU_DEP_1)
	v_fmac_f32_e32 v18, v20, v21
	v_fmac_f32_e32 v18, v5, v22
	s_cbranch_scc1 .LBB95_16
	s_branch .LBB95_11
.LBB95_17:                              ;   in Loop: Header=BB95_9 Depth=1
	s_or_b32 exec_lo, exec_lo, s19
.LBB95_18:                              ;   in Loop: Header=BB95_9 Depth=1
	s_delay_alu instid0(SALU_CYCLE_1) | instskip(NEXT) | instid1(SALU_CYCLE_1)
	s_or_b32 exec_lo, exec_lo, s18
	s_mov_b32 s1, exec_lo
	v_cmpx_gt_i32_e64 s22, v0
	s_cbranch_execz .LBB95_8
; %bb.19:                               ;   in Loop: Header=BB95_9 Depth=1
	s_and_b32 vcc_lo, exec_lo, s3
	s_cbranch_vccz .LBB95_25
; %bb.20:                               ;   in Loop: Header=BB95_9 Depth=1
	s_and_b32 vcc_lo, exec_lo, s16
	s_mov_b32 s18, -1
	s_cbranch_vccz .LBB95_22
; %bb.21:                               ;   in Loop: Header=BB95_9 Depth=1
	v_lshlrev_b64 v[2:3], 2, v[0:1]
	v_mul_f32_e32 v5, s2, v18
	s_mov_b32 s18, 0
	s_delay_alu instid0(VALU_DEP_2) | instskip(NEXT) | instid1(VALU_DEP_3)
	v_add_co_u32 v2, vcc_lo, v13, v2
	v_add_co_ci_u32_e32 v3, vcc_lo, v14, v3, vcc_lo
	global_load_b32 v4, v[2:3], off
	s_waitcnt vmcnt(0)
	v_fmac_f32_e32 v5, s24, v4
	global_store_b32 v[2:3], v5, off
.LBB95_22:                              ;   in Loop: Header=BB95_9 Depth=1
	s_and_not1_b32 vcc_lo, exec_lo, s18
	s_cbranch_vccnz .LBB95_24
; %bb.23:                               ;   in Loop: Header=BB95_9 Depth=1
	v_mul_lo_u32 v4, v1, s14
	v_mul_lo_u32 v5, v0, s15
	v_mad_u64_u32 v[2:3], null, v0, s14, 0
	s_delay_alu instid0(VALU_DEP_1) | instskip(SKIP_1) | instid1(VALU_DEP_2)
	v_add3_u32 v3, v3, v5, v4
	v_mul_f32_e32 v5, s2, v18
	v_lshlrev_b64 v[2:3], 2, v[2:3]
	s_delay_alu instid0(VALU_DEP_1) | instskip(NEXT) | instid1(VALU_DEP_2)
	v_add_co_u32 v2, vcc_lo, v11, v2
	v_add_co_ci_u32_e32 v3, vcc_lo, v12, v3, vcc_lo
	global_load_b32 v4, v[2:3], off
	s_waitcnt vmcnt(0)
	v_fmac_f32_e32 v5, s24, v4
	global_store_b32 v[2:3], v5, off
.LBB95_24:                              ;   in Loop: Header=BB95_9 Depth=1
	s_cbranch_execnz .LBB95_8
	s_branch .LBB95_26
.LBB95_25:                              ;   in Loop: Header=BB95_9 Depth=1
.LBB95_26:                              ;   in Loop: Header=BB95_9 Depth=1
	v_mul_f32_e32 v2, s2, v18
	s_and_b32 vcc_lo, exec_lo, s16
	s_mov_b32 s18, -1
	s_cbranch_vccz .LBB95_28
; %bb.27:                               ;   in Loop: Header=BB95_9 Depth=1
	v_lshlrev_b64 v[3:4], 2, v[0:1]
	s_mov_b32 s18, 0
	s_delay_alu instid0(VALU_DEP_1) | instskip(NEXT) | instid1(VALU_DEP_2)
	v_add_co_u32 v3, vcc_lo, v13, v3
	v_add_co_ci_u32_e32 v4, vcc_lo, v14, v4, vcc_lo
	global_store_b32 v[3:4], v2, off
.LBB95_28:                              ;   in Loop: Header=BB95_9 Depth=1
	s_and_not1_b32 vcc_lo, exec_lo, s18
	s_cbranch_vccnz .LBB95_8
; %bb.29:                               ;   in Loop: Header=BB95_9 Depth=1
	v_mul_lo_u32 v1, v1, s14
	v_mul_lo_u32 v5, v0, s15
	v_mad_u64_u32 v[3:4], null, v0, s14, 0
	s_delay_alu instid0(VALU_DEP_1) | instskip(NEXT) | instid1(VALU_DEP_1)
	v_add3_u32 v4, v4, v5, v1
	v_lshlrev_b64 v[0:1], 2, v[3:4]
	s_delay_alu instid0(VALU_DEP_1) | instskip(NEXT) | instid1(VALU_DEP_2)
	v_add_co_u32 v0, vcc_lo, v11, v0
	v_add_co_ci_u32_e32 v1, vcc_lo, v12, v1, vcc_lo
	global_store_b32 v[0:1], v2, off
	s_branch .LBB95_8
.LBB95_30:
	s_nop 0
	s_sendmsg sendmsg(MSG_DEALLOC_VGPRS)
	s_endpgm
	.section	.rodata,"a",@progbits
	.p2align	6, 0x0
	.amdhsa_kernel _ZN9rocsparseL29bsrmmnt_small_blockdim_kernelILj64ELj32ELj2EiiaaffEEv20rocsparse_direction_T3_S2_llNS_24const_host_device_scalarIT7_EEPKT2_PKS2_PKT4_PKT5_llS5_PT6_ll16rocsparse_order_21rocsparse_index_base_b
		.amdhsa_group_segment_fixed_size 448
		.amdhsa_private_segment_fixed_size 0
		.amdhsa_kernarg_size 392
		.amdhsa_user_sgpr_count 15
		.amdhsa_user_sgpr_dispatch_ptr 0
		.amdhsa_user_sgpr_queue_ptr 0
		.amdhsa_user_sgpr_kernarg_segment_ptr 1
		.amdhsa_user_sgpr_dispatch_id 0
		.amdhsa_user_sgpr_private_segment_size 0
		.amdhsa_wavefront_size32 1
		.amdhsa_uses_dynamic_stack 0
		.amdhsa_enable_private_segment 0
		.amdhsa_system_sgpr_workgroup_id_x 1
		.amdhsa_system_sgpr_workgroup_id_y 0
		.amdhsa_system_sgpr_workgroup_id_z 0
		.amdhsa_system_sgpr_workgroup_info 0
		.amdhsa_system_vgpr_workitem_id 0
		.amdhsa_next_free_vgpr 35
		.amdhsa_next_free_sgpr 26
		.amdhsa_reserve_vcc 1
		.amdhsa_float_round_mode_32 0
		.amdhsa_float_round_mode_16_64 0
		.amdhsa_float_denorm_mode_32 3
		.amdhsa_float_denorm_mode_16_64 3
		.amdhsa_dx10_clamp 1
		.amdhsa_ieee_mode 1
		.amdhsa_fp16_overflow 0
		.amdhsa_workgroup_processor_mode 1
		.amdhsa_memory_ordered 1
		.amdhsa_forward_progress 0
		.amdhsa_shared_vgpr_count 0
		.amdhsa_exception_fp_ieee_invalid_op 0
		.amdhsa_exception_fp_denorm_src 0
		.amdhsa_exception_fp_ieee_div_zero 0
		.amdhsa_exception_fp_ieee_overflow 0
		.amdhsa_exception_fp_ieee_underflow 0
		.amdhsa_exception_fp_ieee_inexact 0
		.amdhsa_exception_int_div_zero 0
	.end_amdhsa_kernel
	.section	.text._ZN9rocsparseL29bsrmmnt_small_blockdim_kernelILj64ELj32ELj2EiiaaffEEv20rocsparse_direction_T3_S2_llNS_24const_host_device_scalarIT7_EEPKT2_PKS2_PKT4_PKT5_llS5_PT6_ll16rocsparse_order_21rocsparse_index_base_b,"axG",@progbits,_ZN9rocsparseL29bsrmmnt_small_blockdim_kernelILj64ELj32ELj2EiiaaffEEv20rocsparse_direction_T3_S2_llNS_24const_host_device_scalarIT7_EEPKT2_PKS2_PKT4_PKT5_llS5_PT6_ll16rocsparse_order_21rocsparse_index_base_b,comdat
.Lfunc_end95:
	.size	_ZN9rocsparseL29bsrmmnt_small_blockdim_kernelILj64ELj32ELj2EiiaaffEEv20rocsparse_direction_T3_S2_llNS_24const_host_device_scalarIT7_EEPKT2_PKS2_PKT4_PKT5_llS5_PT6_ll16rocsparse_order_21rocsparse_index_base_b, .Lfunc_end95-_ZN9rocsparseL29bsrmmnt_small_blockdim_kernelILj64ELj32ELj2EiiaaffEEv20rocsparse_direction_T3_S2_llNS_24const_host_device_scalarIT7_EEPKT2_PKS2_PKT4_PKT5_llS5_PT6_ll16rocsparse_order_21rocsparse_index_base_b
                                        ; -- End function
	.section	.AMDGPU.csdata,"",@progbits
; Kernel info:
; codeLenInByte = 1492
; NumSgprs: 28
; NumVgprs: 35
; ScratchSize: 0
; MemoryBound: 0
; FloatMode: 240
; IeeeMode: 1
; LDSByteSize: 448 bytes/workgroup (compile time only)
; SGPRBlocks: 3
; VGPRBlocks: 4
; NumSGPRsForWavesPerEU: 28
; NumVGPRsForWavesPerEU: 35
; Occupancy: 16
; WaveLimiterHint : 0
; COMPUTE_PGM_RSRC2:SCRATCH_EN: 0
; COMPUTE_PGM_RSRC2:USER_SGPR: 15
; COMPUTE_PGM_RSRC2:TRAP_HANDLER: 0
; COMPUTE_PGM_RSRC2:TGID_X_EN: 1
; COMPUTE_PGM_RSRC2:TGID_Y_EN: 0
; COMPUTE_PGM_RSRC2:TGID_Z_EN: 0
; COMPUTE_PGM_RSRC2:TIDIG_COMP_CNT: 0
	.section	.text._ZN9rocsparseL29bsrmmnt_small_blockdim_kernelILj64ELj64ELj2EiiaaffEEv20rocsparse_direction_T3_S2_llNS_24const_host_device_scalarIT7_EEPKT2_PKS2_PKT4_PKT5_llS5_PT6_ll16rocsparse_order_21rocsparse_index_base_b,"axG",@progbits,_ZN9rocsparseL29bsrmmnt_small_blockdim_kernelILj64ELj64ELj2EiiaaffEEv20rocsparse_direction_T3_S2_llNS_24const_host_device_scalarIT7_EEPKT2_PKS2_PKT4_PKT5_llS5_PT6_ll16rocsparse_order_21rocsparse_index_base_b,comdat
	.globl	_ZN9rocsparseL29bsrmmnt_small_blockdim_kernelILj64ELj64ELj2EiiaaffEEv20rocsparse_direction_T3_S2_llNS_24const_host_device_scalarIT7_EEPKT2_PKS2_PKT4_PKT5_llS5_PT6_ll16rocsparse_order_21rocsparse_index_base_b ; -- Begin function _ZN9rocsparseL29bsrmmnt_small_blockdim_kernelILj64ELj64ELj2EiiaaffEEv20rocsparse_direction_T3_S2_llNS_24const_host_device_scalarIT7_EEPKT2_PKS2_PKT4_PKT5_llS5_PT6_ll16rocsparse_order_21rocsparse_index_base_b
	.p2align	8
	.type	_ZN9rocsparseL29bsrmmnt_small_blockdim_kernelILj64ELj64ELj2EiiaaffEEv20rocsparse_direction_T3_S2_llNS_24const_host_device_scalarIT7_EEPKT2_PKS2_PKT4_PKT5_llS5_PT6_ll16rocsparse_order_21rocsparse_index_base_b,@function
_ZN9rocsparseL29bsrmmnt_small_blockdim_kernelILj64ELj64ELj2EiiaaffEEv20rocsparse_direction_T3_S2_llNS_24const_host_device_scalarIT7_EEPKT2_PKS2_PKT4_PKT5_llS5_PT6_ll16rocsparse_order_21rocsparse_index_base_b: ; @_ZN9rocsparseL29bsrmmnt_small_blockdim_kernelILj64ELj64ELj2EiiaaffEEv20rocsparse_direction_T3_S2_llNS_24const_host_device_scalarIT7_EEPKT2_PKS2_PKT4_PKT5_llS5_PT6_ll16rocsparse_order_21rocsparse_index_base_b
; %bb.0:
	s_clause 0x2
	s_load_b128 s[16:19], s[0:1], 0x78
	s_load_b64 s[2:3], s[0:1], 0x20
	s_load_b64 s[24:25], s[0:1], 0x58
	s_waitcnt lgkmcnt(0)
	s_bitcmp1_b32 s18, 0
	s_cselect_b32 s4, -1, 0
	s_delay_alu instid0(SALU_CYCLE_1)
	s_and_b32 vcc_lo, exec_lo, s4
	s_xor_b32 s4, s4, -1
	s_cbranch_vccnz .LBB96_2
; %bb.1:
	s_load_b32 s2, s[2:3], 0x0
.LBB96_2:
	s_and_not1_b32 vcc_lo, exec_lo, s4
	s_cbranch_vccnz .LBB96_4
; %bb.3:
	s_load_b32 s24, s[24:25], 0x0
.LBB96_4:
	s_waitcnt lgkmcnt(0)
	v_cmp_eq_f32_e64 s3, s2, 0
	v_cmp_eq_f32_e64 s4, s24, 1.0
	s_delay_alu instid0(VALU_DEP_1) | instskip(NEXT) | instid1(SALU_CYCLE_1)
	s_and_b32 s3, s3, s4
	s_and_b32 vcc_lo, exec_lo, s3
	s_cbranch_vccnz .LBB96_30
; %bb.5:
	s_clause 0x1
	s_load_b32 s3, s[0:1], 0x94
	s_load_b128 s[20:23], s[0:1], 0x0
	s_waitcnt lgkmcnt(0)
	s_and_b32 s3, s3, 0xffff
	s_delay_alu instid0(SALU_CYCLE_1) | instskip(SKIP_1) | instid1(VALU_DEP_1)
	v_mad_u64_u32 v[1:2], null, s15, s3, v[0:1]
	s_mov_b32 s3, exec_lo
	v_lshrrev_b32_e32 v2, 7, v1
	s_delay_alu instid0(VALU_DEP_1)
	v_cmpx_gt_i32_e64 s21, v2
	s_cbranch_execz .LBB96_30
; %bb.6:
	s_cmp_lt_i32 s22, 1
	s_cbranch_scc1 .LBB96_30
; %bb.7:
	s_load_b256 s[4:11], s[0:1], 0x28
	v_lshlrev_b32_e32 v2, 2, v2
	s_load_b128 s[12:15], s[0:1], 0x60
	v_lshrrev_b32_e32 v8, 6, v1
	s_cmp_lg_u32 s16, 1
	v_mul_u32_u24_e32 v9, 3, v0
	s_cselect_b32 s16, -1, 0
	s_cmp_eq_u32 s20, 0
	v_bfe_u32 v1, v1, 6, 1
	v_cmp_neq_f32_e64 s3, s24, 0
	s_waitcnt lgkmcnt(0)
	global_load_b64 v[2:3], v2, s[4:5]
	s_load_b64 s[4:5], s[0:1], 0x48
	v_mad_u64_u32 v[4:5], null, v8, s14, 0
	s_cselect_b32 s1, -1, 0
	s_delay_alu instid0(SALU_CYCLE_1) | instskip(SKIP_1) | instid1(VALU_DEP_2)
	v_cndmask_b32_e64 v15, 0, 1, s1
	s_and_b32 s1, s1, exec_lo
	v_mad_u64_u32 v[6:7], null, v8, s15, v[5:6]
	v_lshlrev_b32_e32 v7, 2, v0
	s_delay_alu instid0(VALU_DEP_3) | instskip(NEXT) | instid1(VALU_DEP_3)
	v_lshlrev_b32_e32 v15, v15, v1
	v_dual_mov_b32 v5, v6 :: v_dual_lshlrev_b32 v6, 2, v8
	v_or_b32_e32 v8, 0x100, v9
	s_delay_alu instid0(VALU_DEP_2) | instskip(NEXT) | instid1(VALU_DEP_3)
	v_lshlrev_b64 v[4:5], 2, v[4:5]
	v_add_co_u32 v9, s0, s12, v6
	s_delay_alu instid0(VALU_DEP_1) | instskip(NEXT) | instid1(VALU_DEP_3)
	v_add_co_ci_u32_e64 v10, null, s13, 0, s0
	v_add_co_u32 v11, vcc_lo, s12, v4
	s_delay_alu instid0(VALU_DEP_4)
	v_add_co_ci_u32_e32 v12, vcc_lo, s13, v5, vcc_lo
	s_mov_b32 s12, 0
	s_cselect_b32 s13, 1, 2
	s_waitcnt vmcnt(0)
	v_subrev_nc_u32_e32 v13, s17, v2
	v_subrev_nc_u32_e32 v14, s17, v3
	v_cmp_lt_i32_e64 s0, v2, v3
	s_branch .LBB96_9
.LBB96_8:                               ;   in Loop: Header=BB96_9 Depth=1
	s_or_b32 exec_lo, exec_lo, s1
	s_add_i32 s12, s12, 64
	s_delay_alu instid0(SALU_CYCLE_1)
	s_cmp_lt_i32 s12, s22
	s_cbranch_scc0 .LBB96_30
.LBB96_9:                               ; =>This Loop Header: Depth=1
                                        ;     Child Loop BB96_12 Depth 2
                                        ;       Child Loop BB96_16 Depth 3
	v_or_b32_e32 v1, s12, v0
	v_mov_b32_e32 v16, 0
	s_delay_alu instid0(VALU_DEP_2)
	v_ashrrev_i32_e32 v2, 31, v1
	s_and_saveexec_b32 s18, s0
	s_cbranch_execz .LBB96_18
; %bb.10:                               ;   in Loop: Header=BB96_9 Depth=1
	v_add_co_u32 v3, s1, s10, v1
	v_cmp_gt_i32_e32 vcc_lo, s22, v1
	v_add_co_ci_u32_e64 v4, s1, s11, v2, s1
	v_dual_mov_b32 v16, 0 :: v_dual_mov_b32 v17, v13
	s_mov_b32 s19, 0
	s_branch .LBB96_12
.LBB96_11:                              ;   in Loop: Header=BB96_12 Depth=2
	s_or_b32 exec_lo, exec_lo, s1
	v_add_nc_u32_e32 v17, 64, v17
	s_delay_alu instid0(VALU_DEP_1) | instskip(NEXT) | instid1(VALU_DEP_1)
	v_cmp_ge_i32_e64 s1, v17, v14
	s_or_b32 s19, s1, s19
	s_delay_alu instid0(SALU_CYCLE_1)
	s_and_not1_b32 exec_lo, exec_lo, s19
	s_cbranch_execz .LBB96_17
.LBB96_12:                              ;   Parent Loop BB96_9 Depth=1
                                        ; =>  This Loop Header: Depth=2
                                        ;       Child Loop BB96_16 Depth 3
	s_delay_alu instid0(VALU_DEP_1) | instskip(SKIP_2) | instid1(VALU_DEP_2)
	v_dual_mov_b32 v18, 0 :: v_dual_add_nc_u32 v5, v17, v0
	v_dual_mov_b32 v6, 0 :: v_dual_mov_b32 v19, 0
	s_mov_b32 s20, exec_lo
	v_cmpx_lt_i32_e64 v5, v14
	s_cbranch_execz .LBB96_14
; %bb.13:                               ;   in Loop: Header=BB96_12 Depth=2
	v_ashrrev_i32_e32 v6, 31, v5
	s_delay_alu instid0(VALU_DEP_1) | instskip(SKIP_1) | instid1(VALU_DEP_1)
	v_lshlrev_b64 v[18:19], 2, v[5:6]
	v_lshl_or_b32 v5, v5, 2, v15
	v_or_b32_e32 v6, s13, v5
	s_delay_alu instid0(VALU_DEP_3) | instskip(NEXT) | instid1(VALU_DEP_1)
	v_add_co_u32 v18, s1, s6, v18
	v_add_co_ci_u32_e64 v19, s1, s7, v19, s1
	global_load_b32 v18, v[18:19], off
	s_clause 0x1
	global_load_i8 v19, v6, s[8:9]
	global_load_u8 v6, v5, s[8:9]
	s_waitcnt vmcnt(1)
	v_cvt_f32_i32_e32 v19, v19
	v_subrev_nc_u32_e32 v5, s17, v18
	s_delay_alu instid0(VALU_DEP_1)
	v_lshlrev_b32_e32 v18, 1, v5
.LBB96_14:                              ;   in Loop: Header=BB96_12 Depth=2
	s_or_b32 exec_lo, exec_lo, s20
	s_delay_alu instid0(VALU_DEP_2)
	v_cvt_i32_f32_e32 v5, v19
	ds_store_b32 v7, v18
	s_waitcnt vmcnt(0)
	ds_store_b8 v8, v6
	ds_store_b8 v8, v5 offset:1
	s_waitcnt lgkmcnt(0)
	s_waitcnt_vscnt null, 0x0
	s_barrier
	buffer_gl0_inv
	s_and_saveexec_b32 s1, vcc_lo
	s_cbranch_execz .LBB96_11
; %bb.15:                               ;   in Loop: Header=BB96_12 Depth=2
	v_mov_b32_e32 v5, 0x100
	s_mov_b32 s20, 0
.LBB96_16:                              ;   Parent Loop BB96_9 Depth=1
                                        ;     Parent Loop BB96_12 Depth=2
                                        ; =>    This Inner Loop Header: Depth=3
	s_delay_alu instid0(SALU_CYCLE_1)
	v_mov_b32_e32 v6, s20
	s_add_i32 s20, s20, 8
	ds_load_b64 v[18:19], v6
	s_waitcnt lgkmcnt(0)
	v_readfirstlane_b32 s21, v18
	v_readfirstlane_b32 s23, v19
	s_delay_alu instid0(VALU_DEP_2)
	v_mad_u64_u32 v[18:19], null, s21, s4, v[3:4]
	s_ashr_i32 s25, s21, 31
	s_mul_i32 s26, s21, s5
	s_add_i32 s21, s21, 1
	s_mul_i32 s25, s25, s4
	v_mad_u64_u32 v[22:23], null, s21, s4, v[3:4]
	s_delay_alu instid0(VALU_DEP_2)
	v_add3_u32 v19, s26, s25, v19
	s_ashr_i32 s29, s21, 31
	s_ashr_i32 s27, s23, 31
	v_mad_u64_u32 v[20:21], null, s23, s4, v[3:4]
	s_mul_i32 s28, s23, s5
	s_add_i32 s23, s23, 1
	s_mul_i32 s21, s21, s5
	s_mul_i32 s29, s29, s4
	v_mad_u64_u32 v[24:25], null, s23, s4, v[3:4]
	v_add3_u32 v23, s21, s29, v23
	global_load_i8 v6, v[18:19], off
	s_ashr_i32 s21, s23, 31
	s_mul_i32 s27, s27, s4
	s_mul_i32 s23, s23, s5
	global_load_i8 v18, v[22:23], off
	s_mul_i32 s21, s21, s4
	v_add3_u32 v21, s28, s27, v21
	v_add3_u32 v25, s23, s21, v25
	s_clause 0x1
	global_load_i8 v19, v[20:21], off
	global_load_i8 v20, v[24:25], off
	ds_load_u16 v21, v5
	ds_load_i8 v22, v5 offset:3
	ds_load_i8 v23, v5 offset:4
	v_add_nc_u32_e32 v5, 6, v5
	s_cmpk_lg_i32 s20, 0x100
	s_waitcnt lgkmcnt(2)
	v_bfe_i32 v24, v21, 0, 8
	v_ashrrev_i16 v21, 8, v21
	s_delay_alu instid0(VALU_DEP_2) | instskip(NEXT) | instid1(VALU_DEP_2)
	v_bfe_i32 v24, v24, 0, 16
	v_bfe_i32 v21, v21, 0, 16
	s_delay_alu instid0(VALU_DEP_2) | instskip(NEXT) | instid1(VALU_DEP_2)
	v_cvt_f32_i32_e32 v24, v24
	v_cvt_f32_i32_e32 v21, v21
	s_waitcnt vmcnt(3)
	v_cvt_f32_i32_e32 v6, v6
	s_waitcnt vmcnt(2)
	v_cvt_f32_i32_e32 v18, v18
	s_delay_alu instid0(VALU_DEP_2)
	v_fmac_f32_e32 v16, v24, v6
	s_waitcnt lgkmcnt(1)
	v_cvt_f32_i32_e32 v6, v22
	s_waitcnt vmcnt(1)
	v_cvt_f32_i32_e32 v19, v19
	v_fmac_f32_e32 v16, v21, v18
	s_waitcnt lgkmcnt(0)
	v_cvt_f32_i32_e32 v18, v23
	s_waitcnt vmcnt(0)
	v_cvt_f32_i32_e32 v20, v20
	v_fmac_f32_e32 v16, v6, v19
	s_delay_alu instid0(VALU_DEP_1)
	v_fmac_f32_e32 v16, v18, v20
	s_cbranch_scc1 .LBB96_16
	s_branch .LBB96_11
.LBB96_17:                              ;   in Loop: Header=BB96_9 Depth=1
	s_or_b32 exec_lo, exec_lo, s19
.LBB96_18:                              ;   in Loop: Header=BB96_9 Depth=1
	s_delay_alu instid0(SALU_CYCLE_1) | instskip(NEXT) | instid1(SALU_CYCLE_1)
	s_or_b32 exec_lo, exec_lo, s18
	s_mov_b32 s1, exec_lo
	v_cmpx_gt_i32_e64 s22, v1
	s_cbranch_execz .LBB96_8
; %bb.19:                               ;   in Loop: Header=BB96_9 Depth=1
	s_and_b32 vcc_lo, exec_lo, s3
	s_cbranch_vccz .LBB96_25
; %bb.20:                               ;   in Loop: Header=BB96_9 Depth=1
	s_and_b32 vcc_lo, exec_lo, s16
	s_mov_b32 s18, -1
	s_cbranch_vccz .LBB96_22
; %bb.21:                               ;   in Loop: Header=BB96_9 Depth=1
	v_lshlrev_b64 v[3:4], 2, v[1:2]
	v_mul_f32_e32 v6, s2, v16
	s_mov_b32 s18, 0
	s_delay_alu instid0(VALU_DEP_2) | instskip(NEXT) | instid1(VALU_DEP_3)
	v_add_co_u32 v3, vcc_lo, v11, v3
	v_add_co_ci_u32_e32 v4, vcc_lo, v12, v4, vcc_lo
	global_load_b32 v5, v[3:4], off
	s_waitcnt vmcnt(0)
	v_fmac_f32_e32 v6, s24, v5
	global_store_b32 v[3:4], v6, off
.LBB96_22:                              ;   in Loop: Header=BB96_9 Depth=1
	s_and_not1_b32 vcc_lo, exec_lo, s18
	s_cbranch_vccnz .LBB96_24
; %bb.23:                               ;   in Loop: Header=BB96_9 Depth=1
	v_mul_lo_u32 v5, v2, s14
	v_mul_lo_u32 v6, v1, s15
	v_mad_u64_u32 v[3:4], null, v1, s14, 0
	s_delay_alu instid0(VALU_DEP_1) | instskip(SKIP_1) | instid1(VALU_DEP_2)
	v_add3_u32 v4, v4, v6, v5
	v_mul_f32_e32 v6, s2, v16
	v_lshlrev_b64 v[3:4], 2, v[3:4]
	s_delay_alu instid0(VALU_DEP_1) | instskip(NEXT) | instid1(VALU_DEP_2)
	v_add_co_u32 v3, vcc_lo, v9, v3
	v_add_co_ci_u32_e32 v4, vcc_lo, v10, v4, vcc_lo
	global_load_b32 v5, v[3:4], off
	s_waitcnt vmcnt(0)
	v_fmac_f32_e32 v6, s24, v5
	global_store_b32 v[3:4], v6, off
.LBB96_24:                              ;   in Loop: Header=BB96_9 Depth=1
	s_cbranch_execnz .LBB96_8
	s_branch .LBB96_26
.LBB96_25:                              ;   in Loop: Header=BB96_9 Depth=1
.LBB96_26:                              ;   in Loop: Header=BB96_9 Depth=1
	v_mul_f32_e32 v3, s2, v16
	s_and_b32 vcc_lo, exec_lo, s16
	s_mov_b32 s18, -1
	s_cbranch_vccz .LBB96_28
; %bb.27:                               ;   in Loop: Header=BB96_9 Depth=1
	v_lshlrev_b64 v[4:5], 2, v[1:2]
	s_mov_b32 s18, 0
	s_delay_alu instid0(VALU_DEP_1) | instskip(NEXT) | instid1(VALU_DEP_2)
	v_add_co_u32 v4, vcc_lo, v11, v4
	v_add_co_ci_u32_e32 v5, vcc_lo, v12, v5, vcc_lo
	global_store_b32 v[4:5], v3, off
.LBB96_28:                              ;   in Loop: Header=BB96_9 Depth=1
	s_and_not1_b32 vcc_lo, exec_lo, s18
	s_cbranch_vccnz .LBB96_8
; %bb.29:                               ;   in Loop: Header=BB96_9 Depth=1
	v_mul_lo_u32 v2, v2, s14
	v_mul_lo_u32 v6, v1, s15
	v_mad_u64_u32 v[4:5], null, v1, s14, 0
	s_delay_alu instid0(VALU_DEP_1) | instskip(NEXT) | instid1(VALU_DEP_1)
	v_add3_u32 v5, v5, v6, v2
	v_lshlrev_b64 v[1:2], 2, v[4:5]
	s_delay_alu instid0(VALU_DEP_1) | instskip(NEXT) | instid1(VALU_DEP_2)
	v_add_co_u32 v1, vcc_lo, v9, v1
	v_add_co_ci_u32_e32 v2, vcc_lo, v10, v2, vcc_lo
	global_store_b32 v[1:2], v3, off
	s_branch .LBB96_8
.LBB96_30:
	s_nop 0
	s_sendmsg sendmsg(MSG_DEALLOC_VGPRS)
	s_endpgm
	.section	.rodata,"a",@progbits
	.p2align	6, 0x0
	.amdhsa_kernel _ZN9rocsparseL29bsrmmnt_small_blockdim_kernelILj64ELj64ELj2EiiaaffEEv20rocsparse_direction_T3_S2_llNS_24const_host_device_scalarIT7_EEPKT2_PKS2_PKT4_PKT5_llS5_PT6_ll16rocsparse_order_21rocsparse_index_base_b
		.amdhsa_group_segment_fixed_size 448
		.amdhsa_private_segment_fixed_size 0
		.amdhsa_kernarg_size 392
		.amdhsa_user_sgpr_count 15
		.amdhsa_user_sgpr_dispatch_ptr 0
		.amdhsa_user_sgpr_queue_ptr 0
		.amdhsa_user_sgpr_kernarg_segment_ptr 1
		.amdhsa_user_sgpr_dispatch_id 0
		.amdhsa_user_sgpr_private_segment_size 0
		.amdhsa_wavefront_size32 1
		.amdhsa_uses_dynamic_stack 0
		.amdhsa_enable_private_segment 0
		.amdhsa_system_sgpr_workgroup_id_x 1
		.amdhsa_system_sgpr_workgroup_id_y 0
		.amdhsa_system_sgpr_workgroup_id_z 0
		.amdhsa_system_sgpr_workgroup_info 0
		.amdhsa_system_vgpr_workitem_id 0
		.amdhsa_next_free_vgpr 26
		.amdhsa_next_free_sgpr 30
		.amdhsa_reserve_vcc 1
		.amdhsa_float_round_mode_32 0
		.amdhsa_float_round_mode_16_64 0
		.amdhsa_float_denorm_mode_32 3
		.amdhsa_float_denorm_mode_16_64 3
		.amdhsa_dx10_clamp 1
		.amdhsa_ieee_mode 1
		.amdhsa_fp16_overflow 0
		.amdhsa_workgroup_processor_mode 1
		.amdhsa_memory_ordered 1
		.amdhsa_forward_progress 0
		.amdhsa_shared_vgpr_count 0
		.amdhsa_exception_fp_ieee_invalid_op 0
		.amdhsa_exception_fp_denorm_src 0
		.amdhsa_exception_fp_ieee_div_zero 0
		.amdhsa_exception_fp_ieee_overflow 0
		.amdhsa_exception_fp_ieee_underflow 0
		.amdhsa_exception_fp_ieee_inexact 0
		.amdhsa_exception_int_div_zero 0
	.end_amdhsa_kernel
	.section	.text._ZN9rocsparseL29bsrmmnt_small_blockdim_kernelILj64ELj64ELj2EiiaaffEEv20rocsparse_direction_T3_S2_llNS_24const_host_device_scalarIT7_EEPKT2_PKS2_PKT4_PKT5_llS5_PT6_ll16rocsparse_order_21rocsparse_index_base_b,"axG",@progbits,_ZN9rocsparseL29bsrmmnt_small_blockdim_kernelILj64ELj64ELj2EiiaaffEEv20rocsparse_direction_T3_S2_llNS_24const_host_device_scalarIT7_EEPKT2_PKS2_PKT4_PKT5_llS5_PT6_ll16rocsparse_order_21rocsparse_index_base_b,comdat
.Lfunc_end96:
	.size	_ZN9rocsparseL29bsrmmnt_small_blockdim_kernelILj64ELj64ELj2EiiaaffEEv20rocsparse_direction_T3_S2_llNS_24const_host_device_scalarIT7_EEPKT2_PKS2_PKT4_PKT5_llS5_PT6_ll16rocsparse_order_21rocsparse_index_base_b, .Lfunc_end96-_ZN9rocsparseL29bsrmmnt_small_blockdim_kernelILj64ELj64ELj2EiiaaffEEv20rocsparse_direction_T3_S2_llNS_24const_host_device_scalarIT7_EEPKT2_PKS2_PKT4_PKT5_llS5_PT6_ll16rocsparse_order_21rocsparse_index_base_b
                                        ; -- End function
	.section	.AMDGPU.csdata,"",@progbits
; Kernel info:
; codeLenInByte = 1452
; NumSgprs: 32
; NumVgprs: 26
; ScratchSize: 0
; MemoryBound: 0
; FloatMode: 240
; IeeeMode: 1
; LDSByteSize: 448 bytes/workgroup (compile time only)
; SGPRBlocks: 3
; VGPRBlocks: 3
; NumSGPRsForWavesPerEU: 32
; NumVGPRsForWavesPerEU: 26
; Occupancy: 16
; WaveLimiterHint : 0
; COMPUTE_PGM_RSRC2:SCRATCH_EN: 0
; COMPUTE_PGM_RSRC2:USER_SGPR: 15
; COMPUTE_PGM_RSRC2:TRAP_HANDLER: 0
; COMPUTE_PGM_RSRC2:TGID_X_EN: 1
; COMPUTE_PGM_RSRC2:TGID_Y_EN: 0
; COMPUTE_PGM_RSRC2:TGID_Z_EN: 0
; COMPUTE_PGM_RSRC2:TIDIG_COMP_CNT: 0
	.section	.text._ZN9rocsparseL29bsrmmnt_small_blockdim_kernelILj64ELj8ELj2EliaaffEEv20rocsparse_direction_T3_S2_llNS_24const_host_device_scalarIT7_EEPKT2_PKS2_PKT4_PKT5_llS5_PT6_ll16rocsparse_order_21rocsparse_index_base_b,"axG",@progbits,_ZN9rocsparseL29bsrmmnt_small_blockdim_kernelILj64ELj8ELj2EliaaffEEv20rocsparse_direction_T3_S2_llNS_24const_host_device_scalarIT7_EEPKT2_PKS2_PKT4_PKT5_llS5_PT6_ll16rocsparse_order_21rocsparse_index_base_b,comdat
	.globl	_ZN9rocsparseL29bsrmmnt_small_blockdim_kernelILj64ELj8ELj2EliaaffEEv20rocsparse_direction_T3_S2_llNS_24const_host_device_scalarIT7_EEPKT2_PKS2_PKT4_PKT5_llS5_PT6_ll16rocsparse_order_21rocsparse_index_base_b ; -- Begin function _ZN9rocsparseL29bsrmmnt_small_blockdim_kernelILj64ELj8ELj2EliaaffEEv20rocsparse_direction_T3_S2_llNS_24const_host_device_scalarIT7_EEPKT2_PKS2_PKT4_PKT5_llS5_PT6_ll16rocsparse_order_21rocsparse_index_base_b
	.p2align	8
	.type	_ZN9rocsparseL29bsrmmnt_small_blockdim_kernelILj64ELj8ELj2EliaaffEEv20rocsparse_direction_T3_S2_llNS_24const_host_device_scalarIT7_EEPKT2_PKS2_PKT4_PKT5_llS5_PT6_ll16rocsparse_order_21rocsparse_index_base_b,@function
_ZN9rocsparseL29bsrmmnt_small_blockdim_kernelILj64ELj8ELj2EliaaffEEv20rocsparse_direction_T3_S2_llNS_24const_host_device_scalarIT7_EEPKT2_PKS2_PKT4_PKT5_llS5_PT6_ll16rocsparse_order_21rocsparse_index_base_b: ; @_ZN9rocsparseL29bsrmmnt_small_blockdim_kernelILj64ELj8ELj2EliaaffEEv20rocsparse_direction_T3_S2_llNS_24const_host_device_scalarIT7_EEPKT2_PKS2_PKT4_PKT5_llS5_PT6_ll16rocsparse_order_21rocsparse_index_base_b
; %bb.0:
	s_clause 0x2
	s_load_b128 s[16:19], s[0:1], 0x78
	s_load_b64 s[2:3], s[0:1], 0x20
	s_load_b64 s[24:25], s[0:1], 0x58
	s_waitcnt lgkmcnt(0)
	s_bitcmp1_b32 s18, 0
	s_cselect_b32 s4, -1, 0
	s_delay_alu instid0(SALU_CYCLE_1)
	s_and_b32 vcc_lo, exec_lo, s4
	s_xor_b32 s4, s4, -1
	s_cbranch_vccnz .LBB97_2
; %bb.1:
	s_load_b32 s2, s[2:3], 0x0
.LBB97_2:
	s_and_not1_b32 vcc_lo, exec_lo, s4
	s_cbranch_vccnz .LBB97_4
; %bb.3:
	s_load_b32 s24, s[24:25], 0x0
.LBB97_4:
	s_waitcnt lgkmcnt(0)
	v_cmp_eq_f32_e64 s3, s2, 0
	v_cmp_eq_f32_e64 s4, s24, 1.0
	s_delay_alu instid0(VALU_DEP_1) | instskip(NEXT) | instid1(SALU_CYCLE_1)
	s_and_b32 s3, s3, s4
	s_and_b32 vcc_lo, exec_lo, s3
	s_cbranch_vccnz .LBB97_30
; %bb.5:
	s_clause 0x1
	s_load_b32 s3, s[0:1], 0x94
	s_load_b128 s[20:23], s[0:1], 0x0
	s_waitcnt lgkmcnt(0)
	s_and_b32 s3, s3, 0xffff
	s_delay_alu instid0(SALU_CYCLE_1) | instskip(SKIP_1) | instid1(VALU_DEP_1)
	v_mad_u64_u32 v[1:2], null, s15, s3, v[0:1]
	s_mov_b32 s3, exec_lo
	v_lshrrev_b32_e32 v2, 4, v1
	s_delay_alu instid0(VALU_DEP_1)
	v_cmpx_gt_i32_e64 s21, v2
	s_cbranch_execz .LBB97_30
; %bb.6:
	s_cmp_lt_i32 s22, 1
	s_cbranch_scc1 .LBB97_30
; %bb.7:
	s_load_b256 s[4:11], s[0:1], 0x28
	v_lshlrev_b32_e32 v2, 3, v2
	s_load_b128 s[12:15], s[0:1], 0x60
	v_lshrrev_b32_e32 v10, 3, v1
	v_and_b32_e32 v12, 7, v0
	v_bfe_u32 v11, v1, 3, 1
	s_cmp_lg_u32 s16, 1
	v_cmp_neq_f32_e64 s3, s24, 0
	s_cselect_b32 s16, -1, 0
	s_cmp_eq_u32 s20, 0
	s_waitcnt lgkmcnt(0)
	global_load_b128 v[4:7], v2, s[4:5]
	s_load_b64 s[4:5], s[0:1], 0x48
	v_mad_u64_u32 v[2:3], null, v10, s14, 0
	s_cselect_b32 s1, -1, 0
	s_waitcnt vmcnt(0)
	s_delay_alu instid0(VALU_DEP_1) | instskip(SKIP_2) | instid1(VALU_DEP_2)
	v_mad_u64_u32 v[8:9], null, v10, s15, v[3:4]
	v_lshrrev_b32_e32 v9, 3, v0
	v_cmp_lt_i64_e64 s0, v[4:5], v[6:7]
	v_mul_u32_u24_e32 v0, 24, v9
	s_delay_alu instid0(VALU_DEP_4)
	v_mov_b32_e32 v3, v8
	v_lshlrev_b32_e32 v13, 5, v9
	v_lshlrev_b32_e32 v9, 2, v10
	v_cndmask_b32_e64 v8, 0, 1, s1
	v_or_b32_e32 v14, 0x100, v0
	v_lshlrev_b64 v[0:1], 2, v[2:3]
	v_lshl_or_b32 v15, v12, 2, v13
	s_and_b32 s1, s1, exec_lo
	v_lshlrev_b32_e32 v21, v8, v11
	v_mad_u32_u24 v16, v12, 3, v14
	s_delay_alu instid0(VALU_DEP_4)
	v_add_co_u32 v17, vcc_lo, s12, v0
	v_add_co_ci_u32_e32 v18, vcc_lo, s13, v1, vcc_lo
	v_sub_co_u32 v0, vcc_lo, v4, s17
	v_subrev_co_ci_u32_e32 v1, vcc_lo, 0, v5, vcc_lo
	v_sub_co_u32 v2, vcc_lo, v6, s17
	v_add_co_u32 v19, s12, s12, v9
	v_subrev_co_ci_u32_e32 v3, vcc_lo, 0, v7, vcc_lo
	v_add_co_ci_u32_e64 v20, null, s13, 0, s12
	s_mov_b32 s12, 0
	s_cselect_b32 s13, 1, 2
	s_branch .LBB97_9
.LBB97_8:                               ;   in Loop: Header=BB97_9 Depth=1
	s_or_b32 exec_lo, exec_lo, s1
	s_add_i32 s12, s12, 8
	s_delay_alu instid0(SALU_CYCLE_1)
	s_cmp_lt_i32 s12, s22
	s_cbranch_scc0 .LBB97_30
.LBB97_9:                               ; =>This Loop Header: Depth=1
                                        ;     Child Loop BB97_12 Depth 2
                                        ;       Child Loop BB97_16 Depth 3
	v_or_b32_e32 v4, s12, v12
	v_mov_b32_e32 v22, 0
	s_delay_alu instid0(VALU_DEP_2)
	v_ashrrev_i32_e32 v5, 31, v4
	s_and_saveexec_b32 s18, s0
	s_cbranch_execz .LBB97_18
; %bb.10:                               ;   in Loop: Header=BB97_9 Depth=1
	v_add_co_u32 v6, s1, s10, v4
	v_dual_mov_b32 v22, 0 :: v_dual_mov_b32 v9, v1
	v_cmp_gt_i32_e32 vcc_lo, s22, v4
	v_add_co_ci_u32_e64 v7, s1, s11, v5, s1
	v_mov_b32_e32 v8, v0
	s_mov_b32 s19, 0
	s_branch .LBB97_12
.LBB97_11:                              ;   in Loop: Header=BB97_12 Depth=2
	s_or_b32 exec_lo, exec_lo, s1
	v_add_co_u32 v8, s1, v8, 8
	s_delay_alu instid0(VALU_DEP_1) | instskip(NEXT) | instid1(VALU_DEP_1)
	v_add_co_ci_u32_e64 v9, s1, 0, v9, s1
	v_cmp_ge_i64_e64 s1, v[8:9], v[2:3]
	s_delay_alu instid0(VALU_DEP_1) | instskip(NEXT) | instid1(SALU_CYCLE_1)
	s_or_b32 s19, s1, s19
	s_and_not1_b32 exec_lo, exec_lo, s19
	s_cbranch_execz .LBB97_17
.LBB97_12:                              ;   Parent Loop BB97_9 Depth=1
                                        ; =>  This Loop Header: Depth=2
                                        ;       Child Loop BB97_16 Depth 3
	s_delay_alu instid0(VALU_DEP_1) | instskip(NEXT) | instid1(VALU_DEP_1)
	v_add_co_u32 v10, s1, v8, v12
	v_add_co_ci_u32_e64 v11, s1, 0, v9, s1
	v_dual_mov_b32 v24, 0 :: v_dual_mov_b32 v23, 0
	v_mov_b32_e32 v25, 0
	s_mov_b32 s20, exec_lo
	s_delay_alu instid0(VALU_DEP_3)
	v_cmpx_lt_i64_e64 v[10:11], v[2:3]
	s_cbranch_execz .LBB97_14
; %bb.13:                               ;   in Loop: Header=BB97_12 Depth=2
	v_lshlrev_b64 v[10:11], 2, v[10:11]
	s_delay_alu instid0(VALU_DEP_1) | instskip(NEXT) | instid1(VALU_DEP_2)
	v_or_b32_e32 v23, v10, v21
	v_or_b32_e32 v24, 0, v11
	v_add_co_u32 v10, s1, s6, v10
	s_delay_alu instid0(VALU_DEP_1) | instskip(NEXT) | instid1(VALU_DEP_4)
	v_add_co_ci_u32_e64 v11, s1, s7, v11, s1
	v_or_b32_e32 v25, s13, v23
	s_delay_alu instid0(VALU_DEP_4) | instskip(SKIP_2) | instid1(VALU_DEP_1)
	v_or_b32_e32 v26, 0, v24
	global_load_b32 v27, v[10:11], off
	v_add_co_u32 v10, s1, s8, v25
	v_add_co_ci_u32_e64 v11, s1, s9, v26, s1
	v_add_co_u32 v23, s1, s8, v23
	s_delay_alu instid0(VALU_DEP_1)
	v_add_co_ci_u32_e64 v24, s1, s9, v24, s1
	s_clause 0x1
	global_load_i8 v10, v[10:11], off
	global_load_u8 v23, v[23:24], off
	s_waitcnt vmcnt(2)
	v_subrev_nc_u32_e32 v11, s17, v27
	s_delay_alu instid0(VALU_DEP_1)
	v_lshlrev_b32_e32 v24, 1, v11
	s_waitcnt vmcnt(1)
	v_cvt_f32_i32_e32 v25, v10
.LBB97_14:                              ;   in Loop: Header=BB97_12 Depth=2
	s_or_b32 exec_lo, exec_lo, s20
	s_delay_alu instid0(VALU_DEP_1)
	v_cvt_i32_f32_e32 v10, v25
	ds_store_b32 v15, v24
	s_waitcnt vmcnt(0)
	ds_store_b8 v16, v23
	ds_store_b8 v16, v10 offset:1
	s_waitcnt lgkmcnt(0)
	s_waitcnt_vscnt null, 0x0
	s_barrier
	buffer_gl0_inv
	s_and_saveexec_b32 s1, vcc_lo
	s_cbranch_execz .LBB97_11
; %bb.15:                               ;   in Loop: Header=BB97_12 Depth=2
	v_mov_b32_e32 v10, v14
	s_mov_b32 s20, 0
.LBB97_16:                              ;   Parent Loop BB97_9 Depth=1
                                        ;     Parent Loop BB97_12 Depth=2
                                        ; =>    This Inner Loop Header: Depth=3
	s_delay_alu instid0(SALU_CYCLE_1) | instskip(SKIP_1) | instid1(SALU_CYCLE_1)
	v_add_nc_u32_e32 v11, s20, v13
	s_add_i32 s20, s20, 8
	s_cmp_lg_u32 s20, 32
	ds_load_b64 v[23:24], v11
	s_waitcnt lgkmcnt(0)
	v_add_nc_u32_e32 v30, 1, v23
	v_ashrrev_i32_e32 v11, 31, v23
	v_mul_lo_u32 v29, v23, s5
	v_mad_u64_u32 v[25:26], null, v23, s4, v[6:7]
	s_delay_alu instid0(VALU_DEP_4)
	v_ashrrev_i32_e32 v34, 31, v30
	v_ashrrev_i32_e32 v31, 31, v24
	v_mul_lo_u32 v32, v24, s5
	v_mad_u64_u32 v[27:28], null, v24, s4, v[6:7]
	v_add_nc_u32_e32 v33, 1, v24
	v_mul_lo_u32 v11, v11, s4
	v_mul_lo_u32 v35, v30, s5
	v_mad_u64_u32 v[23:24], null, v30, s4, v[6:7]
	v_mul_lo_u32 v34, v34, s4
	v_ashrrev_i32_e32 v36, 31, v33
	v_mul_lo_u32 v31, v31, s4
	v_mul_lo_u32 v37, v33, s5
	v_add3_u32 v26, v11, v26, v29
	v_mad_u64_u32 v[29:30], null, v33, s4, v[6:7]
	v_add3_u32 v24, v34, v24, v35
	global_load_i8 v11, v[25:26], off
	v_add3_u32 v28, v31, v28, v32
	global_load_i8 v23, v[23:24], off
	v_mul_lo_u32 v25, v36, s4
	s_delay_alu instid0(VALU_DEP_1)
	v_add3_u32 v30, v25, v30, v37
	s_clause 0x1
	global_load_i8 v24, v[27:28], off
	global_load_i8 v25, v[29:30], off
	ds_load_u16 v26, v10
	ds_load_i8 v27, v10 offset:3
	ds_load_i8 v28, v10 offset:4
	v_add_nc_u32_e32 v10, 6, v10
	s_waitcnt lgkmcnt(2)
	v_bfe_i32 v29, v26, 0, 8
	v_ashrrev_i16 v26, 8, v26
	s_delay_alu instid0(VALU_DEP_2) | instskip(NEXT) | instid1(VALU_DEP_2)
	v_bfe_i32 v29, v29, 0, 16
	v_bfe_i32 v26, v26, 0, 16
	s_delay_alu instid0(VALU_DEP_2) | instskip(NEXT) | instid1(VALU_DEP_2)
	v_cvt_f32_i32_e32 v29, v29
	v_cvt_f32_i32_e32 v26, v26
	s_waitcnt vmcnt(3)
	v_cvt_f32_i32_e32 v11, v11
	s_delay_alu instid0(VALU_DEP_1) | instskip(SKIP_4) | instid1(VALU_DEP_2)
	v_fmac_f32_e32 v22, v29, v11
	s_waitcnt vmcnt(2)
	v_cvt_f32_i32_e32 v11, v23
	s_waitcnt lgkmcnt(1)
	v_cvt_f32_i32_e32 v23, v27
	v_fmac_f32_e32 v22, v26, v11
	s_waitcnt lgkmcnt(0)
	v_cvt_f32_i32_e32 v11, v28
	s_waitcnt vmcnt(1)
	v_cvt_f32_i32_e32 v24, v24
	s_waitcnt vmcnt(0)
	v_cvt_f32_i32_e32 v25, v25
	s_delay_alu instid0(VALU_DEP_2) | instskip(NEXT) | instid1(VALU_DEP_1)
	v_fmac_f32_e32 v22, v23, v24
	v_fmac_f32_e32 v22, v11, v25
	s_cbranch_scc1 .LBB97_16
	s_branch .LBB97_11
.LBB97_17:                              ;   in Loop: Header=BB97_9 Depth=1
	s_or_b32 exec_lo, exec_lo, s19
.LBB97_18:                              ;   in Loop: Header=BB97_9 Depth=1
	s_delay_alu instid0(SALU_CYCLE_1) | instskip(NEXT) | instid1(SALU_CYCLE_1)
	s_or_b32 exec_lo, exec_lo, s18
	s_mov_b32 s1, exec_lo
	v_cmpx_gt_i32_e64 s22, v4
	s_cbranch_execz .LBB97_8
; %bb.19:                               ;   in Loop: Header=BB97_9 Depth=1
	s_and_b32 vcc_lo, exec_lo, s3
	s_cbranch_vccz .LBB97_25
; %bb.20:                               ;   in Loop: Header=BB97_9 Depth=1
	s_and_b32 vcc_lo, exec_lo, s16
	s_mov_b32 s18, -1
	s_cbranch_vccz .LBB97_22
; %bb.21:                               ;   in Loop: Header=BB97_9 Depth=1
	v_lshlrev_b64 v[6:7], 2, v[4:5]
	v_mul_f32_e32 v9, s2, v22
	s_mov_b32 s18, 0
	s_delay_alu instid0(VALU_DEP_2) | instskip(NEXT) | instid1(VALU_DEP_3)
	v_add_co_u32 v6, vcc_lo, v17, v6
	v_add_co_ci_u32_e32 v7, vcc_lo, v18, v7, vcc_lo
	global_load_b32 v8, v[6:7], off
	s_waitcnt vmcnt(0)
	v_fmac_f32_e32 v9, s24, v8
	global_store_b32 v[6:7], v9, off
.LBB97_22:                              ;   in Loop: Header=BB97_9 Depth=1
	s_and_not1_b32 vcc_lo, exec_lo, s18
	s_cbranch_vccnz .LBB97_24
; %bb.23:                               ;   in Loop: Header=BB97_9 Depth=1
	v_mul_lo_u32 v8, v5, s14
	v_mul_lo_u32 v9, v4, s15
	v_mad_u64_u32 v[6:7], null, v4, s14, 0
	s_delay_alu instid0(VALU_DEP_1) | instskip(SKIP_1) | instid1(VALU_DEP_2)
	v_add3_u32 v7, v7, v9, v8
	v_mul_f32_e32 v9, s2, v22
	v_lshlrev_b64 v[6:7], 2, v[6:7]
	s_delay_alu instid0(VALU_DEP_1) | instskip(NEXT) | instid1(VALU_DEP_2)
	v_add_co_u32 v6, vcc_lo, v19, v6
	v_add_co_ci_u32_e32 v7, vcc_lo, v20, v7, vcc_lo
	global_load_b32 v8, v[6:7], off
	s_waitcnt vmcnt(0)
	v_fmac_f32_e32 v9, s24, v8
	global_store_b32 v[6:7], v9, off
.LBB97_24:                              ;   in Loop: Header=BB97_9 Depth=1
	s_cbranch_execnz .LBB97_8
	s_branch .LBB97_26
.LBB97_25:                              ;   in Loop: Header=BB97_9 Depth=1
.LBB97_26:                              ;   in Loop: Header=BB97_9 Depth=1
	v_mul_f32_e32 v6, s2, v22
	s_and_b32 vcc_lo, exec_lo, s16
	s_mov_b32 s18, -1
	s_cbranch_vccz .LBB97_28
; %bb.27:                               ;   in Loop: Header=BB97_9 Depth=1
	v_lshlrev_b64 v[7:8], 2, v[4:5]
	s_mov_b32 s18, 0
	s_delay_alu instid0(VALU_DEP_1) | instskip(NEXT) | instid1(VALU_DEP_2)
	v_add_co_u32 v7, vcc_lo, v17, v7
	v_add_co_ci_u32_e32 v8, vcc_lo, v18, v8, vcc_lo
	global_store_b32 v[7:8], v6, off
.LBB97_28:                              ;   in Loop: Header=BB97_9 Depth=1
	s_and_not1_b32 vcc_lo, exec_lo, s18
	s_cbranch_vccnz .LBB97_8
; %bb.29:                               ;   in Loop: Header=BB97_9 Depth=1
	v_mul_lo_u32 v5, v5, s14
	v_mul_lo_u32 v9, v4, s15
	v_mad_u64_u32 v[7:8], null, v4, s14, 0
	s_delay_alu instid0(VALU_DEP_1) | instskip(NEXT) | instid1(VALU_DEP_1)
	v_add3_u32 v8, v8, v9, v5
	v_lshlrev_b64 v[4:5], 2, v[7:8]
	s_delay_alu instid0(VALU_DEP_1) | instskip(NEXT) | instid1(VALU_DEP_2)
	v_add_co_u32 v4, vcc_lo, v19, v4
	v_add_co_ci_u32_e32 v5, vcc_lo, v20, v5, vcc_lo
	global_store_b32 v[4:5], v6, off
	s_branch .LBB97_8
.LBB97_30:
	s_nop 0
	s_sendmsg sendmsg(MSG_DEALLOC_VGPRS)
	s_endpgm
	.section	.rodata,"a",@progbits
	.p2align	6, 0x0
	.amdhsa_kernel _ZN9rocsparseL29bsrmmnt_small_blockdim_kernelILj64ELj8ELj2EliaaffEEv20rocsparse_direction_T3_S2_llNS_24const_host_device_scalarIT7_EEPKT2_PKS2_PKT4_PKT5_llS5_PT6_ll16rocsparse_order_21rocsparse_index_base_b
		.amdhsa_group_segment_fixed_size 448
		.amdhsa_private_segment_fixed_size 0
		.amdhsa_kernarg_size 392
		.amdhsa_user_sgpr_count 15
		.amdhsa_user_sgpr_dispatch_ptr 0
		.amdhsa_user_sgpr_queue_ptr 0
		.amdhsa_user_sgpr_kernarg_segment_ptr 1
		.amdhsa_user_sgpr_dispatch_id 0
		.amdhsa_user_sgpr_private_segment_size 0
		.amdhsa_wavefront_size32 1
		.amdhsa_uses_dynamic_stack 0
		.amdhsa_enable_private_segment 0
		.amdhsa_system_sgpr_workgroup_id_x 1
		.amdhsa_system_sgpr_workgroup_id_y 0
		.amdhsa_system_sgpr_workgroup_id_z 0
		.amdhsa_system_sgpr_workgroup_info 0
		.amdhsa_system_vgpr_workitem_id 0
		.amdhsa_next_free_vgpr 38
		.amdhsa_next_free_sgpr 26
		.amdhsa_reserve_vcc 1
		.amdhsa_float_round_mode_32 0
		.amdhsa_float_round_mode_16_64 0
		.amdhsa_float_denorm_mode_32 3
		.amdhsa_float_denorm_mode_16_64 3
		.amdhsa_dx10_clamp 1
		.amdhsa_ieee_mode 1
		.amdhsa_fp16_overflow 0
		.amdhsa_workgroup_processor_mode 1
		.amdhsa_memory_ordered 1
		.amdhsa_forward_progress 0
		.amdhsa_shared_vgpr_count 0
		.amdhsa_exception_fp_ieee_invalid_op 0
		.amdhsa_exception_fp_denorm_src 0
		.amdhsa_exception_fp_ieee_div_zero 0
		.amdhsa_exception_fp_ieee_overflow 0
		.amdhsa_exception_fp_ieee_underflow 0
		.amdhsa_exception_fp_ieee_inexact 0
		.amdhsa_exception_int_div_zero 0
	.end_amdhsa_kernel
	.section	.text._ZN9rocsparseL29bsrmmnt_small_blockdim_kernelILj64ELj8ELj2EliaaffEEv20rocsparse_direction_T3_S2_llNS_24const_host_device_scalarIT7_EEPKT2_PKS2_PKT4_PKT5_llS5_PT6_ll16rocsparse_order_21rocsparse_index_base_b,"axG",@progbits,_ZN9rocsparseL29bsrmmnt_small_blockdim_kernelILj64ELj8ELj2EliaaffEEv20rocsparse_direction_T3_S2_llNS_24const_host_device_scalarIT7_EEPKT2_PKS2_PKT4_PKT5_llS5_PT6_ll16rocsparse_order_21rocsparse_index_base_b,comdat
.Lfunc_end97:
	.size	_ZN9rocsparseL29bsrmmnt_small_blockdim_kernelILj64ELj8ELj2EliaaffEEv20rocsparse_direction_T3_S2_llNS_24const_host_device_scalarIT7_EEPKT2_PKS2_PKT4_PKT5_llS5_PT6_ll16rocsparse_order_21rocsparse_index_base_b, .Lfunc_end97-_ZN9rocsparseL29bsrmmnt_small_blockdim_kernelILj64ELj8ELj2EliaaffEEv20rocsparse_direction_T3_S2_llNS_24const_host_device_scalarIT7_EEPKT2_PKS2_PKT4_PKT5_llS5_PT6_ll16rocsparse_order_21rocsparse_index_base_b
                                        ; -- End function
	.section	.AMDGPU.csdata,"",@progbits
; Kernel info:
; codeLenInByte = 1580
; NumSgprs: 28
; NumVgprs: 38
; ScratchSize: 0
; MemoryBound: 0
; FloatMode: 240
; IeeeMode: 1
; LDSByteSize: 448 bytes/workgroup (compile time only)
; SGPRBlocks: 3
; VGPRBlocks: 4
; NumSGPRsForWavesPerEU: 28
; NumVGPRsForWavesPerEU: 38
; Occupancy: 16
; WaveLimiterHint : 0
; COMPUTE_PGM_RSRC2:SCRATCH_EN: 0
; COMPUTE_PGM_RSRC2:USER_SGPR: 15
; COMPUTE_PGM_RSRC2:TRAP_HANDLER: 0
; COMPUTE_PGM_RSRC2:TGID_X_EN: 1
; COMPUTE_PGM_RSRC2:TGID_Y_EN: 0
; COMPUTE_PGM_RSRC2:TGID_Z_EN: 0
; COMPUTE_PGM_RSRC2:TIDIG_COMP_CNT: 0
	.section	.text._ZN9rocsparseL29bsrmmnt_small_blockdim_kernelILj64ELj16ELj2EliaaffEEv20rocsparse_direction_T3_S2_llNS_24const_host_device_scalarIT7_EEPKT2_PKS2_PKT4_PKT5_llS5_PT6_ll16rocsparse_order_21rocsparse_index_base_b,"axG",@progbits,_ZN9rocsparseL29bsrmmnt_small_blockdim_kernelILj64ELj16ELj2EliaaffEEv20rocsparse_direction_T3_S2_llNS_24const_host_device_scalarIT7_EEPKT2_PKS2_PKT4_PKT5_llS5_PT6_ll16rocsparse_order_21rocsparse_index_base_b,comdat
	.globl	_ZN9rocsparseL29bsrmmnt_small_blockdim_kernelILj64ELj16ELj2EliaaffEEv20rocsparse_direction_T3_S2_llNS_24const_host_device_scalarIT7_EEPKT2_PKS2_PKT4_PKT5_llS5_PT6_ll16rocsparse_order_21rocsparse_index_base_b ; -- Begin function _ZN9rocsparseL29bsrmmnt_small_blockdim_kernelILj64ELj16ELj2EliaaffEEv20rocsparse_direction_T3_S2_llNS_24const_host_device_scalarIT7_EEPKT2_PKS2_PKT4_PKT5_llS5_PT6_ll16rocsparse_order_21rocsparse_index_base_b
	.p2align	8
	.type	_ZN9rocsparseL29bsrmmnt_small_blockdim_kernelILj64ELj16ELj2EliaaffEEv20rocsparse_direction_T3_S2_llNS_24const_host_device_scalarIT7_EEPKT2_PKS2_PKT4_PKT5_llS5_PT6_ll16rocsparse_order_21rocsparse_index_base_b,@function
_ZN9rocsparseL29bsrmmnt_small_blockdim_kernelILj64ELj16ELj2EliaaffEEv20rocsparse_direction_T3_S2_llNS_24const_host_device_scalarIT7_EEPKT2_PKS2_PKT4_PKT5_llS5_PT6_ll16rocsparse_order_21rocsparse_index_base_b: ; @_ZN9rocsparseL29bsrmmnt_small_blockdim_kernelILj64ELj16ELj2EliaaffEEv20rocsparse_direction_T3_S2_llNS_24const_host_device_scalarIT7_EEPKT2_PKS2_PKT4_PKT5_llS5_PT6_ll16rocsparse_order_21rocsparse_index_base_b
; %bb.0:
	s_clause 0x2
	s_load_b128 s[16:19], s[0:1], 0x78
	s_load_b64 s[2:3], s[0:1], 0x20
	s_load_b64 s[24:25], s[0:1], 0x58
	s_waitcnt lgkmcnt(0)
	s_bitcmp1_b32 s18, 0
	s_cselect_b32 s4, -1, 0
	s_delay_alu instid0(SALU_CYCLE_1)
	s_and_b32 vcc_lo, exec_lo, s4
	s_xor_b32 s4, s4, -1
	s_cbranch_vccnz .LBB98_2
; %bb.1:
	s_load_b32 s2, s[2:3], 0x0
.LBB98_2:
	s_and_not1_b32 vcc_lo, exec_lo, s4
	s_cbranch_vccnz .LBB98_4
; %bb.3:
	s_load_b32 s24, s[24:25], 0x0
.LBB98_4:
	s_waitcnt lgkmcnt(0)
	v_cmp_eq_f32_e64 s3, s2, 0
	v_cmp_eq_f32_e64 s4, s24, 1.0
	s_delay_alu instid0(VALU_DEP_1) | instskip(NEXT) | instid1(SALU_CYCLE_1)
	s_and_b32 s3, s3, s4
	s_and_b32 vcc_lo, exec_lo, s3
	s_cbranch_vccnz .LBB98_30
; %bb.5:
	s_clause 0x1
	s_load_b32 s3, s[0:1], 0x94
	s_load_b128 s[20:23], s[0:1], 0x0
	s_waitcnt lgkmcnt(0)
	s_and_b32 s3, s3, 0xffff
	s_delay_alu instid0(SALU_CYCLE_1) | instskip(SKIP_1) | instid1(VALU_DEP_1)
	v_mad_u64_u32 v[1:2], null, s15, s3, v[0:1]
	s_mov_b32 s3, exec_lo
	v_lshrrev_b32_e32 v2, 5, v1
	s_delay_alu instid0(VALU_DEP_1)
	v_cmpx_gt_i32_e64 s21, v2
	s_cbranch_execz .LBB98_30
; %bb.6:
	s_cmp_lt_i32 s22, 1
	s_cbranch_scc1 .LBB98_30
; %bb.7:
	s_load_b256 s[4:11], s[0:1], 0x28
	v_lshlrev_b32_e32 v2, 3, v2
	s_load_b128 s[12:15], s[0:1], 0x60
	v_lshrrev_b32_e32 v10, 4, v1
	v_and_b32_e32 v12, 15, v0
	v_bfe_u32 v11, v1, 4, 1
	s_cmp_lg_u32 s16, 1
	v_cmp_neq_f32_e64 s3, s24, 0
	s_cselect_b32 s16, -1, 0
	s_cmp_eq_u32 s20, 0
	s_waitcnt lgkmcnt(0)
	global_load_b128 v[4:7], v2, s[4:5]
	s_load_b64 s[4:5], s[0:1], 0x48
	v_mad_u64_u32 v[2:3], null, v10, s14, 0
	s_cselect_b32 s1, -1, 0
	s_waitcnt vmcnt(0)
	s_delay_alu instid0(VALU_DEP_1) | instskip(SKIP_2) | instid1(VALU_DEP_2)
	v_mad_u64_u32 v[8:9], null, v10, s15, v[3:4]
	v_lshrrev_b32_e32 v9, 4, v0
	v_cmp_lt_i64_e64 s0, v[4:5], v[6:7]
	v_mul_u32_u24_e32 v0, 48, v9
	s_delay_alu instid0(VALU_DEP_4)
	v_mov_b32_e32 v3, v8
	v_lshlrev_b32_e32 v13, 6, v9
	v_lshlrev_b32_e32 v9, 2, v10
	v_cndmask_b32_e64 v8, 0, 1, s1
	v_or_b32_e32 v14, 0x100, v0
	v_lshlrev_b64 v[0:1], 2, v[2:3]
	v_lshl_or_b32 v15, v12, 2, v13
	s_and_b32 s1, s1, exec_lo
	v_lshlrev_b32_e32 v21, v8, v11
	v_mad_u32_u24 v16, v12, 3, v14
	s_delay_alu instid0(VALU_DEP_4)
	v_add_co_u32 v17, vcc_lo, s12, v0
	v_add_co_ci_u32_e32 v18, vcc_lo, s13, v1, vcc_lo
	v_sub_co_u32 v0, vcc_lo, v4, s17
	v_subrev_co_ci_u32_e32 v1, vcc_lo, 0, v5, vcc_lo
	v_sub_co_u32 v2, vcc_lo, v6, s17
	v_add_co_u32 v19, s12, s12, v9
	v_subrev_co_ci_u32_e32 v3, vcc_lo, 0, v7, vcc_lo
	v_add_co_ci_u32_e64 v20, null, s13, 0, s12
	s_mov_b32 s12, 0
	s_cselect_b32 s13, 1, 2
	s_branch .LBB98_9
.LBB98_8:                               ;   in Loop: Header=BB98_9 Depth=1
	s_or_b32 exec_lo, exec_lo, s1
	s_add_i32 s12, s12, 16
	s_delay_alu instid0(SALU_CYCLE_1)
	s_cmp_lt_i32 s12, s22
	s_cbranch_scc0 .LBB98_30
.LBB98_9:                               ; =>This Loop Header: Depth=1
                                        ;     Child Loop BB98_12 Depth 2
                                        ;       Child Loop BB98_16 Depth 3
	v_or_b32_e32 v4, s12, v12
	v_mov_b32_e32 v22, 0
	s_delay_alu instid0(VALU_DEP_2)
	v_ashrrev_i32_e32 v5, 31, v4
	s_and_saveexec_b32 s18, s0
	s_cbranch_execz .LBB98_18
; %bb.10:                               ;   in Loop: Header=BB98_9 Depth=1
	v_add_co_u32 v6, s1, s10, v4
	v_dual_mov_b32 v22, 0 :: v_dual_mov_b32 v9, v1
	v_cmp_gt_i32_e32 vcc_lo, s22, v4
	v_add_co_ci_u32_e64 v7, s1, s11, v5, s1
	v_mov_b32_e32 v8, v0
	s_mov_b32 s19, 0
	s_branch .LBB98_12
.LBB98_11:                              ;   in Loop: Header=BB98_12 Depth=2
	s_or_b32 exec_lo, exec_lo, s1
	v_add_co_u32 v8, s1, v8, 16
	s_delay_alu instid0(VALU_DEP_1) | instskip(NEXT) | instid1(VALU_DEP_1)
	v_add_co_ci_u32_e64 v9, s1, 0, v9, s1
	v_cmp_ge_i64_e64 s1, v[8:9], v[2:3]
	s_delay_alu instid0(VALU_DEP_1) | instskip(NEXT) | instid1(SALU_CYCLE_1)
	s_or_b32 s19, s1, s19
	s_and_not1_b32 exec_lo, exec_lo, s19
	s_cbranch_execz .LBB98_17
.LBB98_12:                              ;   Parent Loop BB98_9 Depth=1
                                        ; =>  This Loop Header: Depth=2
                                        ;       Child Loop BB98_16 Depth 3
	s_delay_alu instid0(VALU_DEP_1) | instskip(NEXT) | instid1(VALU_DEP_1)
	v_add_co_u32 v10, s1, v8, v12
	v_add_co_ci_u32_e64 v11, s1, 0, v9, s1
	v_dual_mov_b32 v24, 0 :: v_dual_mov_b32 v23, 0
	v_mov_b32_e32 v25, 0
	s_mov_b32 s20, exec_lo
	s_delay_alu instid0(VALU_DEP_3)
	v_cmpx_lt_i64_e64 v[10:11], v[2:3]
	s_cbranch_execz .LBB98_14
; %bb.13:                               ;   in Loop: Header=BB98_12 Depth=2
	v_lshlrev_b64 v[10:11], 2, v[10:11]
	s_delay_alu instid0(VALU_DEP_1) | instskip(NEXT) | instid1(VALU_DEP_2)
	v_or_b32_e32 v23, v10, v21
	v_or_b32_e32 v24, 0, v11
	v_add_co_u32 v10, s1, s6, v10
	s_delay_alu instid0(VALU_DEP_1) | instskip(NEXT) | instid1(VALU_DEP_4)
	v_add_co_ci_u32_e64 v11, s1, s7, v11, s1
	v_or_b32_e32 v25, s13, v23
	s_delay_alu instid0(VALU_DEP_4) | instskip(SKIP_2) | instid1(VALU_DEP_1)
	v_or_b32_e32 v26, 0, v24
	global_load_b32 v27, v[10:11], off
	v_add_co_u32 v10, s1, s8, v25
	v_add_co_ci_u32_e64 v11, s1, s9, v26, s1
	v_add_co_u32 v23, s1, s8, v23
	s_delay_alu instid0(VALU_DEP_1)
	v_add_co_ci_u32_e64 v24, s1, s9, v24, s1
	s_clause 0x1
	global_load_i8 v10, v[10:11], off
	global_load_u8 v23, v[23:24], off
	s_waitcnt vmcnt(2)
	v_subrev_nc_u32_e32 v11, s17, v27
	s_delay_alu instid0(VALU_DEP_1)
	v_lshlrev_b32_e32 v24, 1, v11
	s_waitcnt vmcnt(1)
	v_cvt_f32_i32_e32 v25, v10
.LBB98_14:                              ;   in Loop: Header=BB98_12 Depth=2
	s_or_b32 exec_lo, exec_lo, s20
	s_delay_alu instid0(VALU_DEP_1)
	v_cvt_i32_f32_e32 v10, v25
	ds_store_b32 v15, v24
	s_waitcnt vmcnt(0)
	ds_store_b8 v16, v23
	ds_store_b8 v16, v10 offset:1
	s_waitcnt lgkmcnt(0)
	s_waitcnt_vscnt null, 0x0
	s_barrier
	buffer_gl0_inv
	s_and_saveexec_b32 s1, vcc_lo
	s_cbranch_execz .LBB98_11
; %bb.15:                               ;   in Loop: Header=BB98_12 Depth=2
	v_mov_b32_e32 v10, v14
	s_mov_b32 s20, 0
.LBB98_16:                              ;   Parent Loop BB98_9 Depth=1
                                        ;     Parent Loop BB98_12 Depth=2
                                        ; =>    This Inner Loop Header: Depth=3
	s_delay_alu instid0(SALU_CYCLE_1) | instskip(SKIP_1) | instid1(SALU_CYCLE_1)
	v_add_nc_u32_e32 v11, s20, v13
	s_add_i32 s20, s20, 8
	s_cmp_lg_u32 s20, 64
	ds_load_b64 v[23:24], v11
	s_waitcnt lgkmcnt(0)
	v_add_nc_u32_e32 v30, 1, v23
	v_ashrrev_i32_e32 v11, 31, v23
	v_mul_lo_u32 v29, v23, s5
	v_mad_u64_u32 v[25:26], null, v23, s4, v[6:7]
	s_delay_alu instid0(VALU_DEP_4)
	v_ashrrev_i32_e32 v34, 31, v30
	v_ashrrev_i32_e32 v31, 31, v24
	v_mul_lo_u32 v32, v24, s5
	v_mad_u64_u32 v[27:28], null, v24, s4, v[6:7]
	v_add_nc_u32_e32 v33, 1, v24
	v_mul_lo_u32 v11, v11, s4
	v_mul_lo_u32 v35, v30, s5
	v_mad_u64_u32 v[23:24], null, v30, s4, v[6:7]
	v_mul_lo_u32 v34, v34, s4
	v_ashrrev_i32_e32 v36, 31, v33
	v_mul_lo_u32 v31, v31, s4
	v_mul_lo_u32 v37, v33, s5
	v_add3_u32 v26, v11, v26, v29
	v_mad_u64_u32 v[29:30], null, v33, s4, v[6:7]
	v_add3_u32 v24, v34, v24, v35
	global_load_i8 v11, v[25:26], off
	v_add3_u32 v28, v31, v28, v32
	global_load_i8 v23, v[23:24], off
	v_mul_lo_u32 v25, v36, s4
	s_delay_alu instid0(VALU_DEP_1)
	v_add3_u32 v30, v25, v30, v37
	s_clause 0x1
	global_load_i8 v24, v[27:28], off
	global_load_i8 v25, v[29:30], off
	ds_load_u16 v26, v10
	ds_load_i8 v27, v10 offset:3
	ds_load_i8 v28, v10 offset:4
	v_add_nc_u32_e32 v10, 6, v10
	s_waitcnt lgkmcnt(2)
	v_bfe_i32 v29, v26, 0, 8
	v_ashrrev_i16 v26, 8, v26
	s_delay_alu instid0(VALU_DEP_2) | instskip(NEXT) | instid1(VALU_DEP_2)
	v_bfe_i32 v29, v29, 0, 16
	v_bfe_i32 v26, v26, 0, 16
	s_delay_alu instid0(VALU_DEP_2) | instskip(NEXT) | instid1(VALU_DEP_2)
	v_cvt_f32_i32_e32 v29, v29
	v_cvt_f32_i32_e32 v26, v26
	s_waitcnt vmcnt(3)
	v_cvt_f32_i32_e32 v11, v11
	s_delay_alu instid0(VALU_DEP_1) | instskip(SKIP_4) | instid1(VALU_DEP_2)
	v_fmac_f32_e32 v22, v29, v11
	s_waitcnt vmcnt(2)
	v_cvt_f32_i32_e32 v11, v23
	s_waitcnt lgkmcnt(1)
	v_cvt_f32_i32_e32 v23, v27
	v_fmac_f32_e32 v22, v26, v11
	s_waitcnt lgkmcnt(0)
	v_cvt_f32_i32_e32 v11, v28
	s_waitcnt vmcnt(1)
	v_cvt_f32_i32_e32 v24, v24
	s_waitcnt vmcnt(0)
	v_cvt_f32_i32_e32 v25, v25
	s_delay_alu instid0(VALU_DEP_2) | instskip(NEXT) | instid1(VALU_DEP_1)
	v_fmac_f32_e32 v22, v23, v24
	v_fmac_f32_e32 v22, v11, v25
	s_cbranch_scc1 .LBB98_16
	s_branch .LBB98_11
.LBB98_17:                              ;   in Loop: Header=BB98_9 Depth=1
	s_or_b32 exec_lo, exec_lo, s19
.LBB98_18:                              ;   in Loop: Header=BB98_9 Depth=1
	s_delay_alu instid0(SALU_CYCLE_1) | instskip(NEXT) | instid1(SALU_CYCLE_1)
	s_or_b32 exec_lo, exec_lo, s18
	s_mov_b32 s1, exec_lo
	v_cmpx_gt_i32_e64 s22, v4
	s_cbranch_execz .LBB98_8
; %bb.19:                               ;   in Loop: Header=BB98_9 Depth=1
	s_and_b32 vcc_lo, exec_lo, s3
	s_cbranch_vccz .LBB98_25
; %bb.20:                               ;   in Loop: Header=BB98_9 Depth=1
	s_and_b32 vcc_lo, exec_lo, s16
	s_mov_b32 s18, -1
	s_cbranch_vccz .LBB98_22
; %bb.21:                               ;   in Loop: Header=BB98_9 Depth=1
	v_lshlrev_b64 v[6:7], 2, v[4:5]
	v_mul_f32_e32 v9, s2, v22
	s_mov_b32 s18, 0
	s_delay_alu instid0(VALU_DEP_2) | instskip(NEXT) | instid1(VALU_DEP_3)
	v_add_co_u32 v6, vcc_lo, v17, v6
	v_add_co_ci_u32_e32 v7, vcc_lo, v18, v7, vcc_lo
	global_load_b32 v8, v[6:7], off
	s_waitcnt vmcnt(0)
	v_fmac_f32_e32 v9, s24, v8
	global_store_b32 v[6:7], v9, off
.LBB98_22:                              ;   in Loop: Header=BB98_9 Depth=1
	s_and_not1_b32 vcc_lo, exec_lo, s18
	s_cbranch_vccnz .LBB98_24
; %bb.23:                               ;   in Loop: Header=BB98_9 Depth=1
	v_mul_lo_u32 v8, v5, s14
	v_mul_lo_u32 v9, v4, s15
	v_mad_u64_u32 v[6:7], null, v4, s14, 0
	s_delay_alu instid0(VALU_DEP_1) | instskip(SKIP_1) | instid1(VALU_DEP_2)
	v_add3_u32 v7, v7, v9, v8
	v_mul_f32_e32 v9, s2, v22
	v_lshlrev_b64 v[6:7], 2, v[6:7]
	s_delay_alu instid0(VALU_DEP_1) | instskip(NEXT) | instid1(VALU_DEP_2)
	v_add_co_u32 v6, vcc_lo, v19, v6
	v_add_co_ci_u32_e32 v7, vcc_lo, v20, v7, vcc_lo
	global_load_b32 v8, v[6:7], off
	s_waitcnt vmcnt(0)
	v_fmac_f32_e32 v9, s24, v8
	global_store_b32 v[6:7], v9, off
.LBB98_24:                              ;   in Loop: Header=BB98_9 Depth=1
	s_cbranch_execnz .LBB98_8
	s_branch .LBB98_26
.LBB98_25:                              ;   in Loop: Header=BB98_9 Depth=1
.LBB98_26:                              ;   in Loop: Header=BB98_9 Depth=1
	v_mul_f32_e32 v6, s2, v22
	s_and_b32 vcc_lo, exec_lo, s16
	s_mov_b32 s18, -1
	s_cbranch_vccz .LBB98_28
; %bb.27:                               ;   in Loop: Header=BB98_9 Depth=1
	v_lshlrev_b64 v[7:8], 2, v[4:5]
	s_mov_b32 s18, 0
	s_delay_alu instid0(VALU_DEP_1) | instskip(NEXT) | instid1(VALU_DEP_2)
	v_add_co_u32 v7, vcc_lo, v17, v7
	v_add_co_ci_u32_e32 v8, vcc_lo, v18, v8, vcc_lo
	global_store_b32 v[7:8], v6, off
.LBB98_28:                              ;   in Loop: Header=BB98_9 Depth=1
	s_and_not1_b32 vcc_lo, exec_lo, s18
	s_cbranch_vccnz .LBB98_8
; %bb.29:                               ;   in Loop: Header=BB98_9 Depth=1
	v_mul_lo_u32 v5, v5, s14
	v_mul_lo_u32 v9, v4, s15
	v_mad_u64_u32 v[7:8], null, v4, s14, 0
	s_delay_alu instid0(VALU_DEP_1) | instskip(NEXT) | instid1(VALU_DEP_1)
	v_add3_u32 v8, v8, v9, v5
	v_lshlrev_b64 v[4:5], 2, v[7:8]
	s_delay_alu instid0(VALU_DEP_1) | instskip(NEXT) | instid1(VALU_DEP_2)
	v_add_co_u32 v4, vcc_lo, v19, v4
	v_add_co_ci_u32_e32 v5, vcc_lo, v20, v5, vcc_lo
	global_store_b32 v[4:5], v6, off
	s_branch .LBB98_8
.LBB98_30:
	s_nop 0
	s_sendmsg sendmsg(MSG_DEALLOC_VGPRS)
	s_endpgm
	.section	.rodata,"a",@progbits
	.p2align	6, 0x0
	.amdhsa_kernel _ZN9rocsparseL29bsrmmnt_small_blockdim_kernelILj64ELj16ELj2EliaaffEEv20rocsparse_direction_T3_S2_llNS_24const_host_device_scalarIT7_EEPKT2_PKS2_PKT4_PKT5_llS5_PT6_ll16rocsparse_order_21rocsparse_index_base_b
		.amdhsa_group_segment_fixed_size 448
		.amdhsa_private_segment_fixed_size 0
		.amdhsa_kernarg_size 392
		.amdhsa_user_sgpr_count 15
		.amdhsa_user_sgpr_dispatch_ptr 0
		.amdhsa_user_sgpr_queue_ptr 0
		.amdhsa_user_sgpr_kernarg_segment_ptr 1
		.amdhsa_user_sgpr_dispatch_id 0
		.amdhsa_user_sgpr_private_segment_size 0
		.amdhsa_wavefront_size32 1
		.amdhsa_uses_dynamic_stack 0
		.amdhsa_enable_private_segment 0
		.amdhsa_system_sgpr_workgroup_id_x 1
		.amdhsa_system_sgpr_workgroup_id_y 0
		.amdhsa_system_sgpr_workgroup_id_z 0
		.amdhsa_system_sgpr_workgroup_info 0
		.amdhsa_system_vgpr_workitem_id 0
		.amdhsa_next_free_vgpr 38
		.amdhsa_next_free_sgpr 26
		.amdhsa_reserve_vcc 1
		.amdhsa_float_round_mode_32 0
		.amdhsa_float_round_mode_16_64 0
		.amdhsa_float_denorm_mode_32 3
		.amdhsa_float_denorm_mode_16_64 3
		.amdhsa_dx10_clamp 1
		.amdhsa_ieee_mode 1
		.amdhsa_fp16_overflow 0
		.amdhsa_workgroup_processor_mode 1
		.amdhsa_memory_ordered 1
		.amdhsa_forward_progress 0
		.amdhsa_shared_vgpr_count 0
		.amdhsa_exception_fp_ieee_invalid_op 0
		.amdhsa_exception_fp_denorm_src 0
		.amdhsa_exception_fp_ieee_div_zero 0
		.amdhsa_exception_fp_ieee_overflow 0
		.amdhsa_exception_fp_ieee_underflow 0
		.amdhsa_exception_fp_ieee_inexact 0
		.amdhsa_exception_int_div_zero 0
	.end_amdhsa_kernel
	.section	.text._ZN9rocsparseL29bsrmmnt_small_blockdim_kernelILj64ELj16ELj2EliaaffEEv20rocsparse_direction_T3_S2_llNS_24const_host_device_scalarIT7_EEPKT2_PKS2_PKT4_PKT5_llS5_PT6_ll16rocsparse_order_21rocsparse_index_base_b,"axG",@progbits,_ZN9rocsparseL29bsrmmnt_small_blockdim_kernelILj64ELj16ELj2EliaaffEEv20rocsparse_direction_T3_S2_llNS_24const_host_device_scalarIT7_EEPKT2_PKS2_PKT4_PKT5_llS5_PT6_ll16rocsparse_order_21rocsparse_index_base_b,comdat
.Lfunc_end98:
	.size	_ZN9rocsparseL29bsrmmnt_small_blockdim_kernelILj64ELj16ELj2EliaaffEEv20rocsparse_direction_T3_S2_llNS_24const_host_device_scalarIT7_EEPKT2_PKS2_PKT4_PKT5_llS5_PT6_ll16rocsparse_order_21rocsparse_index_base_b, .Lfunc_end98-_ZN9rocsparseL29bsrmmnt_small_blockdim_kernelILj64ELj16ELj2EliaaffEEv20rocsparse_direction_T3_S2_llNS_24const_host_device_scalarIT7_EEPKT2_PKS2_PKT4_PKT5_llS5_PT6_ll16rocsparse_order_21rocsparse_index_base_b
                                        ; -- End function
	.section	.AMDGPU.csdata,"",@progbits
; Kernel info:
; codeLenInByte = 1580
; NumSgprs: 28
; NumVgprs: 38
; ScratchSize: 0
; MemoryBound: 0
; FloatMode: 240
; IeeeMode: 1
; LDSByteSize: 448 bytes/workgroup (compile time only)
; SGPRBlocks: 3
; VGPRBlocks: 4
; NumSGPRsForWavesPerEU: 28
; NumVGPRsForWavesPerEU: 38
; Occupancy: 16
; WaveLimiterHint : 0
; COMPUTE_PGM_RSRC2:SCRATCH_EN: 0
; COMPUTE_PGM_RSRC2:USER_SGPR: 15
; COMPUTE_PGM_RSRC2:TRAP_HANDLER: 0
; COMPUTE_PGM_RSRC2:TGID_X_EN: 1
; COMPUTE_PGM_RSRC2:TGID_Y_EN: 0
; COMPUTE_PGM_RSRC2:TGID_Z_EN: 0
; COMPUTE_PGM_RSRC2:TIDIG_COMP_CNT: 0
	.section	.text._ZN9rocsparseL29bsrmmnt_small_blockdim_kernelILj64ELj32ELj2EliaaffEEv20rocsparse_direction_T3_S2_llNS_24const_host_device_scalarIT7_EEPKT2_PKS2_PKT4_PKT5_llS5_PT6_ll16rocsparse_order_21rocsparse_index_base_b,"axG",@progbits,_ZN9rocsparseL29bsrmmnt_small_blockdim_kernelILj64ELj32ELj2EliaaffEEv20rocsparse_direction_T3_S2_llNS_24const_host_device_scalarIT7_EEPKT2_PKS2_PKT4_PKT5_llS5_PT6_ll16rocsparse_order_21rocsparse_index_base_b,comdat
	.globl	_ZN9rocsparseL29bsrmmnt_small_blockdim_kernelILj64ELj32ELj2EliaaffEEv20rocsparse_direction_T3_S2_llNS_24const_host_device_scalarIT7_EEPKT2_PKS2_PKT4_PKT5_llS5_PT6_ll16rocsparse_order_21rocsparse_index_base_b ; -- Begin function _ZN9rocsparseL29bsrmmnt_small_blockdim_kernelILj64ELj32ELj2EliaaffEEv20rocsparse_direction_T3_S2_llNS_24const_host_device_scalarIT7_EEPKT2_PKS2_PKT4_PKT5_llS5_PT6_ll16rocsparse_order_21rocsparse_index_base_b
	.p2align	8
	.type	_ZN9rocsparseL29bsrmmnt_small_blockdim_kernelILj64ELj32ELj2EliaaffEEv20rocsparse_direction_T3_S2_llNS_24const_host_device_scalarIT7_EEPKT2_PKS2_PKT4_PKT5_llS5_PT6_ll16rocsparse_order_21rocsparse_index_base_b,@function
_ZN9rocsparseL29bsrmmnt_small_blockdim_kernelILj64ELj32ELj2EliaaffEEv20rocsparse_direction_T3_S2_llNS_24const_host_device_scalarIT7_EEPKT2_PKS2_PKT4_PKT5_llS5_PT6_ll16rocsparse_order_21rocsparse_index_base_b: ; @_ZN9rocsparseL29bsrmmnt_small_blockdim_kernelILj64ELj32ELj2EliaaffEEv20rocsparse_direction_T3_S2_llNS_24const_host_device_scalarIT7_EEPKT2_PKS2_PKT4_PKT5_llS5_PT6_ll16rocsparse_order_21rocsparse_index_base_b
; %bb.0:
	s_clause 0x2
	s_load_b128 s[16:19], s[0:1], 0x78
	s_load_b64 s[2:3], s[0:1], 0x20
	s_load_b64 s[24:25], s[0:1], 0x58
	s_waitcnt lgkmcnt(0)
	s_bitcmp1_b32 s18, 0
	s_cselect_b32 s4, -1, 0
	s_delay_alu instid0(SALU_CYCLE_1)
	s_and_b32 vcc_lo, exec_lo, s4
	s_xor_b32 s4, s4, -1
	s_cbranch_vccnz .LBB99_2
; %bb.1:
	s_load_b32 s2, s[2:3], 0x0
.LBB99_2:
	s_and_not1_b32 vcc_lo, exec_lo, s4
	s_cbranch_vccnz .LBB99_4
; %bb.3:
	s_load_b32 s24, s[24:25], 0x0
.LBB99_4:
	s_waitcnt lgkmcnt(0)
	v_cmp_eq_f32_e64 s3, s2, 0
	v_cmp_eq_f32_e64 s4, s24, 1.0
	s_delay_alu instid0(VALU_DEP_1) | instskip(NEXT) | instid1(SALU_CYCLE_1)
	s_and_b32 s3, s3, s4
	s_and_b32 vcc_lo, exec_lo, s3
	s_cbranch_vccnz .LBB99_30
; %bb.5:
	s_clause 0x1
	s_load_b32 s3, s[0:1], 0x94
	s_load_b128 s[20:23], s[0:1], 0x0
	s_waitcnt lgkmcnt(0)
	s_and_b32 s3, s3, 0xffff
	s_delay_alu instid0(SALU_CYCLE_1) | instskip(SKIP_1) | instid1(VALU_DEP_1)
	v_mad_u64_u32 v[1:2], null, s15, s3, v[0:1]
	s_mov_b32 s3, exec_lo
	v_lshrrev_b32_e32 v2, 6, v1
	s_delay_alu instid0(VALU_DEP_1)
	v_cmpx_gt_i32_e64 s21, v2
	s_cbranch_execz .LBB99_30
; %bb.6:
	s_cmp_lt_i32 s22, 1
	s_cbranch_scc1 .LBB99_30
; %bb.7:
	s_load_b256 s[4:11], s[0:1], 0x28
	v_lshlrev_b32_e32 v2, 3, v2
	s_load_b128 s[12:15], s[0:1], 0x60
	v_lshrrev_b32_e32 v10, 5, v1
	v_and_b32_e32 v12, 31, v0
	v_bfe_u32 v11, v1, 5, 1
	s_cmp_lg_u32 s16, 1
	v_cmp_neq_f32_e64 s3, s24, 0
	s_cselect_b32 s16, -1, 0
	s_cmp_eq_u32 s20, 0
	s_waitcnt lgkmcnt(0)
	global_load_b128 v[4:7], v2, s[4:5]
	s_load_b64 s[4:5], s[0:1], 0x48
	v_mad_u64_u32 v[2:3], null, v10, s14, 0
	s_cselect_b32 s1, -1, 0
	s_waitcnt vmcnt(0)
	s_delay_alu instid0(VALU_DEP_1) | instskip(SKIP_2) | instid1(VALU_DEP_2)
	v_mad_u64_u32 v[8:9], null, v10, s15, v[3:4]
	v_lshrrev_b32_e32 v9, 5, v0
	v_cmp_lt_i64_e64 s0, v[4:5], v[6:7]
	v_mul_u32_u24_e32 v0, 0x60, v9
	s_delay_alu instid0(VALU_DEP_4)
	v_mov_b32_e32 v3, v8
	v_lshlrev_b32_e32 v13, 7, v9
	v_lshlrev_b32_e32 v9, 2, v10
	v_cndmask_b32_e64 v8, 0, 1, s1
	v_or_b32_e32 v14, 0x100, v0
	v_lshlrev_b64 v[0:1], 2, v[2:3]
	v_lshl_or_b32 v15, v12, 2, v13
	s_and_b32 s1, s1, exec_lo
	v_lshlrev_b32_e32 v21, v8, v11
	v_mad_u32_u24 v16, v12, 3, v14
	s_delay_alu instid0(VALU_DEP_4)
	v_add_co_u32 v17, vcc_lo, s12, v0
	v_add_co_ci_u32_e32 v18, vcc_lo, s13, v1, vcc_lo
	v_sub_co_u32 v0, vcc_lo, v4, s17
	v_subrev_co_ci_u32_e32 v1, vcc_lo, 0, v5, vcc_lo
	v_sub_co_u32 v2, vcc_lo, v6, s17
	v_add_co_u32 v19, s12, s12, v9
	v_subrev_co_ci_u32_e32 v3, vcc_lo, 0, v7, vcc_lo
	v_add_co_ci_u32_e64 v20, null, s13, 0, s12
	s_mov_b32 s12, 0
	s_cselect_b32 s13, 1, 2
	s_branch .LBB99_9
.LBB99_8:                               ;   in Loop: Header=BB99_9 Depth=1
	s_or_b32 exec_lo, exec_lo, s1
	s_add_i32 s12, s12, 32
	s_delay_alu instid0(SALU_CYCLE_1)
	s_cmp_lt_i32 s12, s22
	s_cbranch_scc0 .LBB99_30
.LBB99_9:                               ; =>This Loop Header: Depth=1
                                        ;     Child Loop BB99_12 Depth 2
                                        ;       Child Loop BB99_16 Depth 3
	v_or_b32_e32 v4, s12, v12
	v_mov_b32_e32 v22, 0
	s_delay_alu instid0(VALU_DEP_2)
	v_ashrrev_i32_e32 v5, 31, v4
	s_and_saveexec_b32 s18, s0
	s_cbranch_execz .LBB99_18
; %bb.10:                               ;   in Loop: Header=BB99_9 Depth=1
	v_add_co_u32 v6, s1, s10, v4
	v_dual_mov_b32 v22, 0 :: v_dual_mov_b32 v9, v1
	v_cmp_gt_i32_e32 vcc_lo, s22, v4
	v_add_co_ci_u32_e64 v7, s1, s11, v5, s1
	v_mov_b32_e32 v8, v0
	s_mov_b32 s19, 0
	s_branch .LBB99_12
.LBB99_11:                              ;   in Loop: Header=BB99_12 Depth=2
	s_or_b32 exec_lo, exec_lo, s1
	v_add_co_u32 v8, s1, v8, 32
	s_delay_alu instid0(VALU_DEP_1) | instskip(NEXT) | instid1(VALU_DEP_1)
	v_add_co_ci_u32_e64 v9, s1, 0, v9, s1
	v_cmp_ge_i64_e64 s1, v[8:9], v[2:3]
	s_delay_alu instid0(VALU_DEP_1) | instskip(NEXT) | instid1(SALU_CYCLE_1)
	s_or_b32 s19, s1, s19
	s_and_not1_b32 exec_lo, exec_lo, s19
	s_cbranch_execz .LBB99_17
.LBB99_12:                              ;   Parent Loop BB99_9 Depth=1
                                        ; =>  This Loop Header: Depth=2
                                        ;       Child Loop BB99_16 Depth 3
	s_delay_alu instid0(VALU_DEP_1) | instskip(NEXT) | instid1(VALU_DEP_1)
	v_add_co_u32 v10, s1, v8, v12
	v_add_co_ci_u32_e64 v11, s1, 0, v9, s1
	v_dual_mov_b32 v24, 0 :: v_dual_mov_b32 v23, 0
	v_mov_b32_e32 v25, 0
	s_mov_b32 s20, exec_lo
	s_delay_alu instid0(VALU_DEP_3)
	v_cmpx_lt_i64_e64 v[10:11], v[2:3]
	s_cbranch_execz .LBB99_14
; %bb.13:                               ;   in Loop: Header=BB99_12 Depth=2
	v_lshlrev_b64 v[10:11], 2, v[10:11]
	s_delay_alu instid0(VALU_DEP_1) | instskip(NEXT) | instid1(VALU_DEP_2)
	v_or_b32_e32 v23, v10, v21
	v_or_b32_e32 v24, 0, v11
	v_add_co_u32 v10, s1, s6, v10
	s_delay_alu instid0(VALU_DEP_1) | instskip(NEXT) | instid1(VALU_DEP_4)
	v_add_co_ci_u32_e64 v11, s1, s7, v11, s1
	v_or_b32_e32 v25, s13, v23
	s_delay_alu instid0(VALU_DEP_4) | instskip(SKIP_2) | instid1(VALU_DEP_1)
	v_or_b32_e32 v26, 0, v24
	global_load_b32 v27, v[10:11], off
	v_add_co_u32 v10, s1, s8, v25
	v_add_co_ci_u32_e64 v11, s1, s9, v26, s1
	v_add_co_u32 v23, s1, s8, v23
	s_delay_alu instid0(VALU_DEP_1)
	v_add_co_ci_u32_e64 v24, s1, s9, v24, s1
	s_clause 0x1
	global_load_i8 v10, v[10:11], off
	global_load_u8 v23, v[23:24], off
	s_waitcnt vmcnt(2)
	v_subrev_nc_u32_e32 v11, s17, v27
	s_delay_alu instid0(VALU_DEP_1)
	v_lshlrev_b32_e32 v24, 1, v11
	s_waitcnt vmcnt(1)
	v_cvt_f32_i32_e32 v25, v10
.LBB99_14:                              ;   in Loop: Header=BB99_12 Depth=2
	s_or_b32 exec_lo, exec_lo, s20
	s_delay_alu instid0(VALU_DEP_1)
	v_cvt_i32_f32_e32 v10, v25
	ds_store_b32 v15, v24
	s_waitcnt vmcnt(0)
	ds_store_b8 v16, v23
	ds_store_b8 v16, v10 offset:1
	s_waitcnt lgkmcnt(0)
	s_waitcnt_vscnt null, 0x0
	s_barrier
	buffer_gl0_inv
	s_and_saveexec_b32 s1, vcc_lo
	s_cbranch_execz .LBB99_11
; %bb.15:                               ;   in Loop: Header=BB99_12 Depth=2
	v_mov_b32_e32 v10, v14
	s_mov_b32 s20, 0
.LBB99_16:                              ;   Parent Loop BB99_9 Depth=1
                                        ;     Parent Loop BB99_12 Depth=2
                                        ; =>    This Inner Loop Header: Depth=3
	s_delay_alu instid0(SALU_CYCLE_1) | instskip(SKIP_1) | instid1(SALU_CYCLE_1)
	v_add_nc_u32_e32 v11, s20, v13
	s_add_i32 s20, s20, 8
	s_cmpk_lg_i32 s20, 0x80
	ds_load_b64 v[23:24], v11
	s_waitcnt lgkmcnt(0)
	v_add_nc_u32_e32 v30, 1, v23
	v_ashrrev_i32_e32 v11, 31, v23
	v_mul_lo_u32 v29, v23, s5
	v_mad_u64_u32 v[25:26], null, v23, s4, v[6:7]
	s_delay_alu instid0(VALU_DEP_4)
	v_ashrrev_i32_e32 v34, 31, v30
	v_ashrrev_i32_e32 v31, 31, v24
	v_mul_lo_u32 v32, v24, s5
	v_mad_u64_u32 v[27:28], null, v24, s4, v[6:7]
	v_add_nc_u32_e32 v33, 1, v24
	v_mul_lo_u32 v11, v11, s4
	v_mul_lo_u32 v35, v30, s5
	v_mad_u64_u32 v[23:24], null, v30, s4, v[6:7]
	v_mul_lo_u32 v34, v34, s4
	v_ashrrev_i32_e32 v36, 31, v33
	v_mul_lo_u32 v31, v31, s4
	v_mul_lo_u32 v37, v33, s5
	v_add3_u32 v26, v11, v26, v29
	v_mad_u64_u32 v[29:30], null, v33, s4, v[6:7]
	v_add3_u32 v24, v34, v24, v35
	global_load_i8 v11, v[25:26], off
	v_add3_u32 v28, v31, v28, v32
	global_load_i8 v23, v[23:24], off
	v_mul_lo_u32 v25, v36, s4
	s_delay_alu instid0(VALU_DEP_1)
	v_add3_u32 v30, v25, v30, v37
	s_clause 0x1
	global_load_i8 v24, v[27:28], off
	global_load_i8 v25, v[29:30], off
	ds_load_u16 v26, v10
	ds_load_i8 v27, v10 offset:3
	ds_load_i8 v28, v10 offset:4
	v_add_nc_u32_e32 v10, 6, v10
	s_waitcnt lgkmcnt(2)
	v_bfe_i32 v29, v26, 0, 8
	v_ashrrev_i16 v26, 8, v26
	s_delay_alu instid0(VALU_DEP_2) | instskip(NEXT) | instid1(VALU_DEP_2)
	v_bfe_i32 v29, v29, 0, 16
	v_bfe_i32 v26, v26, 0, 16
	s_delay_alu instid0(VALU_DEP_2) | instskip(NEXT) | instid1(VALU_DEP_2)
	v_cvt_f32_i32_e32 v29, v29
	v_cvt_f32_i32_e32 v26, v26
	s_waitcnt vmcnt(3)
	v_cvt_f32_i32_e32 v11, v11
	s_delay_alu instid0(VALU_DEP_1) | instskip(SKIP_4) | instid1(VALU_DEP_2)
	v_fmac_f32_e32 v22, v29, v11
	s_waitcnt vmcnt(2)
	v_cvt_f32_i32_e32 v11, v23
	s_waitcnt lgkmcnt(1)
	v_cvt_f32_i32_e32 v23, v27
	v_fmac_f32_e32 v22, v26, v11
	s_waitcnt lgkmcnt(0)
	v_cvt_f32_i32_e32 v11, v28
	s_waitcnt vmcnt(1)
	v_cvt_f32_i32_e32 v24, v24
	s_waitcnt vmcnt(0)
	v_cvt_f32_i32_e32 v25, v25
	s_delay_alu instid0(VALU_DEP_2) | instskip(NEXT) | instid1(VALU_DEP_1)
	v_fmac_f32_e32 v22, v23, v24
	v_fmac_f32_e32 v22, v11, v25
	s_cbranch_scc1 .LBB99_16
	s_branch .LBB99_11
.LBB99_17:                              ;   in Loop: Header=BB99_9 Depth=1
	s_or_b32 exec_lo, exec_lo, s19
.LBB99_18:                              ;   in Loop: Header=BB99_9 Depth=1
	s_delay_alu instid0(SALU_CYCLE_1) | instskip(NEXT) | instid1(SALU_CYCLE_1)
	s_or_b32 exec_lo, exec_lo, s18
	s_mov_b32 s1, exec_lo
	v_cmpx_gt_i32_e64 s22, v4
	s_cbranch_execz .LBB99_8
; %bb.19:                               ;   in Loop: Header=BB99_9 Depth=1
	s_and_b32 vcc_lo, exec_lo, s3
	s_cbranch_vccz .LBB99_25
; %bb.20:                               ;   in Loop: Header=BB99_9 Depth=1
	s_and_b32 vcc_lo, exec_lo, s16
	s_mov_b32 s18, -1
	s_cbranch_vccz .LBB99_22
; %bb.21:                               ;   in Loop: Header=BB99_9 Depth=1
	v_lshlrev_b64 v[6:7], 2, v[4:5]
	v_mul_f32_e32 v9, s2, v22
	s_mov_b32 s18, 0
	s_delay_alu instid0(VALU_DEP_2) | instskip(NEXT) | instid1(VALU_DEP_3)
	v_add_co_u32 v6, vcc_lo, v17, v6
	v_add_co_ci_u32_e32 v7, vcc_lo, v18, v7, vcc_lo
	global_load_b32 v8, v[6:7], off
	s_waitcnt vmcnt(0)
	v_fmac_f32_e32 v9, s24, v8
	global_store_b32 v[6:7], v9, off
.LBB99_22:                              ;   in Loop: Header=BB99_9 Depth=1
	s_and_not1_b32 vcc_lo, exec_lo, s18
	s_cbranch_vccnz .LBB99_24
; %bb.23:                               ;   in Loop: Header=BB99_9 Depth=1
	v_mul_lo_u32 v8, v5, s14
	v_mul_lo_u32 v9, v4, s15
	v_mad_u64_u32 v[6:7], null, v4, s14, 0
	s_delay_alu instid0(VALU_DEP_1) | instskip(SKIP_1) | instid1(VALU_DEP_2)
	v_add3_u32 v7, v7, v9, v8
	v_mul_f32_e32 v9, s2, v22
	v_lshlrev_b64 v[6:7], 2, v[6:7]
	s_delay_alu instid0(VALU_DEP_1) | instskip(NEXT) | instid1(VALU_DEP_2)
	v_add_co_u32 v6, vcc_lo, v19, v6
	v_add_co_ci_u32_e32 v7, vcc_lo, v20, v7, vcc_lo
	global_load_b32 v8, v[6:7], off
	s_waitcnt vmcnt(0)
	v_fmac_f32_e32 v9, s24, v8
	global_store_b32 v[6:7], v9, off
.LBB99_24:                              ;   in Loop: Header=BB99_9 Depth=1
	s_cbranch_execnz .LBB99_8
	s_branch .LBB99_26
.LBB99_25:                              ;   in Loop: Header=BB99_9 Depth=1
.LBB99_26:                              ;   in Loop: Header=BB99_9 Depth=1
	v_mul_f32_e32 v6, s2, v22
	s_and_b32 vcc_lo, exec_lo, s16
	s_mov_b32 s18, -1
	s_cbranch_vccz .LBB99_28
; %bb.27:                               ;   in Loop: Header=BB99_9 Depth=1
	v_lshlrev_b64 v[7:8], 2, v[4:5]
	s_mov_b32 s18, 0
	s_delay_alu instid0(VALU_DEP_1) | instskip(NEXT) | instid1(VALU_DEP_2)
	v_add_co_u32 v7, vcc_lo, v17, v7
	v_add_co_ci_u32_e32 v8, vcc_lo, v18, v8, vcc_lo
	global_store_b32 v[7:8], v6, off
.LBB99_28:                              ;   in Loop: Header=BB99_9 Depth=1
	s_and_not1_b32 vcc_lo, exec_lo, s18
	s_cbranch_vccnz .LBB99_8
; %bb.29:                               ;   in Loop: Header=BB99_9 Depth=1
	v_mul_lo_u32 v5, v5, s14
	v_mul_lo_u32 v9, v4, s15
	v_mad_u64_u32 v[7:8], null, v4, s14, 0
	s_delay_alu instid0(VALU_DEP_1) | instskip(NEXT) | instid1(VALU_DEP_1)
	v_add3_u32 v8, v8, v9, v5
	v_lshlrev_b64 v[4:5], 2, v[7:8]
	s_delay_alu instid0(VALU_DEP_1) | instskip(NEXT) | instid1(VALU_DEP_2)
	v_add_co_u32 v4, vcc_lo, v19, v4
	v_add_co_ci_u32_e32 v5, vcc_lo, v20, v5, vcc_lo
	global_store_b32 v[4:5], v6, off
	s_branch .LBB99_8
.LBB99_30:
	s_nop 0
	s_sendmsg sendmsg(MSG_DEALLOC_VGPRS)
	s_endpgm
	.section	.rodata,"a",@progbits
	.p2align	6, 0x0
	.amdhsa_kernel _ZN9rocsparseL29bsrmmnt_small_blockdim_kernelILj64ELj32ELj2EliaaffEEv20rocsparse_direction_T3_S2_llNS_24const_host_device_scalarIT7_EEPKT2_PKS2_PKT4_PKT5_llS5_PT6_ll16rocsparse_order_21rocsparse_index_base_b
		.amdhsa_group_segment_fixed_size 448
		.amdhsa_private_segment_fixed_size 0
		.amdhsa_kernarg_size 392
		.amdhsa_user_sgpr_count 15
		.amdhsa_user_sgpr_dispatch_ptr 0
		.amdhsa_user_sgpr_queue_ptr 0
		.amdhsa_user_sgpr_kernarg_segment_ptr 1
		.amdhsa_user_sgpr_dispatch_id 0
		.amdhsa_user_sgpr_private_segment_size 0
		.amdhsa_wavefront_size32 1
		.amdhsa_uses_dynamic_stack 0
		.amdhsa_enable_private_segment 0
		.amdhsa_system_sgpr_workgroup_id_x 1
		.amdhsa_system_sgpr_workgroup_id_y 0
		.amdhsa_system_sgpr_workgroup_id_z 0
		.amdhsa_system_sgpr_workgroup_info 0
		.amdhsa_system_vgpr_workitem_id 0
		.amdhsa_next_free_vgpr 38
		.amdhsa_next_free_sgpr 26
		.amdhsa_reserve_vcc 1
		.amdhsa_float_round_mode_32 0
		.amdhsa_float_round_mode_16_64 0
		.amdhsa_float_denorm_mode_32 3
		.amdhsa_float_denorm_mode_16_64 3
		.amdhsa_dx10_clamp 1
		.amdhsa_ieee_mode 1
		.amdhsa_fp16_overflow 0
		.amdhsa_workgroup_processor_mode 1
		.amdhsa_memory_ordered 1
		.amdhsa_forward_progress 0
		.amdhsa_shared_vgpr_count 0
		.amdhsa_exception_fp_ieee_invalid_op 0
		.amdhsa_exception_fp_denorm_src 0
		.amdhsa_exception_fp_ieee_div_zero 0
		.amdhsa_exception_fp_ieee_overflow 0
		.amdhsa_exception_fp_ieee_underflow 0
		.amdhsa_exception_fp_ieee_inexact 0
		.amdhsa_exception_int_div_zero 0
	.end_amdhsa_kernel
	.section	.text._ZN9rocsparseL29bsrmmnt_small_blockdim_kernelILj64ELj32ELj2EliaaffEEv20rocsparse_direction_T3_S2_llNS_24const_host_device_scalarIT7_EEPKT2_PKS2_PKT4_PKT5_llS5_PT6_ll16rocsparse_order_21rocsparse_index_base_b,"axG",@progbits,_ZN9rocsparseL29bsrmmnt_small_blockdim_kernelILj64ELj32ELj2EliaaffEEv20rocsparse_direction_T3_S2_llNS_24const_host_device_scalarIT7_EEPKT2_PKS2_PKT4_PKT5_llS5_PT6_ll16rocsparse_order_21rocsparse_index_base_b,comdat
.Lfunc_end99:
	.size	_ZN9rocsparseL29bsrmmnt_small_blockdim_kernelILj64ELj32ELj2EliaaffEEv20rocsparse_direction_T3_S2_llNS_24const_host_device_scalarIT7_EEPKT2_PKS2_PKT4_PKT5_llS5_PT6_ll16rocsparse_order_21rocsparse_index_base_b, .Lfunc_end99-_ZN9rocsparseL29bsrmmnt_small_blockdim_kernelILj64ELj32ELj2EliaaffEEv20rocsparse_direction_T3_S2_llNS_24const_host_device_scalarIT7_EEPKT2_PKS2_PKT4_PKT5_llS5_PT6_ll16rocsparse_order_21rocsparse_index_base_b
                                        ; -- End function
	.section	.AMDGPU.csdata,"",@progbits
; Kernel info:
; codeLenInByte = 1584
; NumSgprs: 28
; NumVgprs: 38
; ScratchSize: 0
; MemoryBound: 0
; FloatMode: 240
; IeeeMode: 1
; LDSByteSize: 448 bytes/workgroup (compile time only)
; SGPRBlocks: 3
; VGPRBlocks: 4
; NumSGPRsForWavesPerEU: 28
; NumVGPRsForWavesPerEU: 38
; Occupancy: 16
; WaveLimiterHint : 0
; COMPUTE_PGM_RSRC2:SCRATCH_EN: 0
; COMPUTE_PGM_RSRC2:USER_SGPR: 15
; COMPUTE_PGM_RSRC2:TRAP_HANDLER: 0
; COMPUTE_PGM_RSRC2:TGID_X_EN: 1
; COMPUTE_PGM_RSRC2:TGID_Y_EN: 0
; COMPUTE_PGM_RSRC2:TGID_Z_EN: 0
; COMPUTE_PGM_RSRC2:TIDIG_COMP_CNT: 0
	.section	.text._ZN9rocsparseL29bsrmmnt_small_blockdim_kernelILj64ELj64ELj2EliaaffEEv20rocsparse_direction_T3_S2_llNS_24const_host_device_scalarIT7_EEPKT2_PKS2_PKT4_PKT5_llS5_PT6_ll16rocsparse_order_21rocsparse_index_base_b,"axG",@progbits,_ZN9rocsparseL29bsrmmnt_small_blockdim_kernelILj64ELj64ELj2EliaaffEEv20rocsparse_direction_T3_S2_llNS_24const_host_device_scalarIT7_EEPKT2_PKS2_PKT4_PKT5_llS5_PT6_ll16rocsparse_order_21rocsparse_index_base_b,comdat
	.globl	_ZN9rocsparseL29bsrmmnt_small_blockdim_kernelILj64ELj64ELj2EliaaffEEv20rocsparse_direction_T3_S2_llNS_24const_host_device_scalarIT7_EEPKT2_PKS2_PKT4_PKT5_llS5_PT6_ll16rocsparse_order_21rocsparse_index_base_b ; -- Begin function _ZN9rocsparseL29bsrmmnt_small_blockdim_kernelILj64ELj64ELj2EliaaffEEv20rocsparse_direction_T3_S2_llNS_24const_host_device_scalarIT7_EEPKT2_PKS2_PKT4_PKT5_llS5_PT6_ll16rocsparse_order_21rocsparse_index_base_b
	.p2align	8
	.type	_ZN9rocsparseL29bsrmmnt_small_blockdim_kernelILj64ELj64ELj2EliaaffEEv20rocsparse_direction_T3_S2_llNS_24const_host_device_scalarIT7_EEPKT2_PKS2_PKT4_PKT5_llS5_PT6_ll16rocsparse_order_21rocsparse_index_base_b,@function
_ZN9rocsparseL29bsrmmnt_small_blockdim_kernelILj64ELj64ELj2EliaaffEEv20rocsparse_direction_T3_S2_llNS_24const_host_device_scalarIT7_EEPKT2_PKS2_PKT4_PKT5_llS5_PT6_ll16rocsparse_order_21rocsparse_index_base_b: ; @_ZN9rocsparseL29bsrmmnt_small_blockdim_kernelILj64ELj64ELj2EliaaffEEv20rocsparse_direction_T3_S2_llNS_24const_host_device_scalarIT7_EEPKT2_PKS2_PKT4_PKT5_llS5_PT6_ll16rocsparse_order_21rocsparse_index_base_b
; %bb.0:
	s_clause 0x2
	s_load_b128 s[16:19], s[0:1], 0x78
	s_load_b64 s[2:3], s[0:1], 0x20
	s_load_b64 s[24:25], s[0:1], 0x58
	s_waitcnt lgkmcnt(0)
	s_bitcmp1_b32 s18, 0
	s_cselect_b32 s4, -1, 0
	s_delay_alu instid0(SALU_CYCLE_1)
	s_and_b32 vcc_lo, exec_lo, s4
	s_xor_b32 s4, s4, -1
	s_cbranch_vccnz .LBB100_2
; %bb.1:
	s_load_b32 s2, s[2:3], 0x0
.LBB100_2:
	s_and_not1_b32 vcc_lo, exec_lo, s4
	s_cbranch_vccnz .LBB100_4
; %bb.3:
	s_load_b32 s24, s[24:25], 0x0
.LBB100_4:
	s_waitcnt lgkmcnt(0)
	v_cmp_eq_f32_e64 s3, s2, 0
	v_cmp_eq_f32_e64 s4, s24, 1.0
	s_delay_alu instid0(VALU_DEP_1) | instskip(NEXT) | instid1(SALU_CYCLE_1)
	s_and_b32 s3, s3, s4
	s_and_b32 vcc_lo, exec_lo, s3
	s_cbranch_vccnz .LBB100_30
; %bb.5:
	s_clause 0x1
	s_load_b32 s3, s[0:1], 0x94
	s_load_b128 s[20:23], s[0:1], 0x0
	s_waitcnt lgkmcnt(0)
	s_and_b32 s3, s3, 0xffff
	s_delay_alu instid0(SALU_CYCLE_1) | instskip(SKIP_1) | instid1(VALU_DEP_1)
	v_mad_u64_u32 v[1:2], null, s15, s3, v[0:1]
	s_mov_b32 s3, exec_lo
	v_lshrrev_b32_e32 v2, 7, v1
	s_delay_alu instid0(VALU_DEP_1)
	v_cmpx_gt_i32_e64 s21, v2
	s_cbranch_execz .LBB100_30
; %bb.6:
	s_cmp_lt_i32 s22, 1
	s_cbranch_scc1 .LBB100_30
; %bb.7:
	s_load_b256 s[4:11], s[0:1], 0x28
	v_lshlrev_b32_e32 v2, 3, v2
	s_load_b128 s[12:15], s[0:1], 0x60
	v_lshrrev_b32_e32 v4, 6, v1
	s_cmp_lg_u32 s16, 1
	v_lshlrev_b32_e32 v13, 2, v0
	s_cselect_b32 s16, -1, 0
	s_cmp_eq_u32 s20, 0
	v_cmp_neq_f32_e64 s3, s24, 0
	s_waitcnt lgkmcnt(0)
	global_load_b128 v[5:8], v2, s[4:5]
	s_load_b64 s[4:5], s[0:1], 0x48
	v_mad_u64_u32 v[2:3], null, v4, s14, 0
	s_cselect_b32 s1, -1, 0
	s_delay_alu instid0(SALU_CYCLE_1) | instskip(SKIP_1) | instid1(VALU_DEP_2)
	v_cndmask_b32_e64 v11, 0, 1, s1
	s_and_b32 s1, s1, exec_lo
	v_mad_u64_u32 v[9:10], null, v4, s15, v[3:4]
	v_bfe_u32 v10, v1, 6, 1
	s_delay_alu instid0(VALU_DEP_1) | instskip(NEXT) | instid1(VALU_DEP_3)
	v_lshlrev_b32_e32 v19, v11, v10
	v_mov_b32_e32 v3, v9
	v_mul_u32_u24_e32 v9, 3, v0
	s_delay_alu instid0(VALU_DEP_2) | instskip(NEXT) | instid1(VALU_DEP_2)
	v_lshlrev_b64 v[1:2], 2, v[2:3]
	v_or_b32_e32 v14, 0x100, v9
	v_lshlrev_b32_e32 v9, 2, v4
	s_delay_alu instid0(VALU_DEP_3) | instskip(NEXT) | instid1(VALU_DEP_4)
	v_add_co_u32 v15, vcc_lo, s12, v1
	v_add_co_ci_u32_e32 v16, vcc_lo, s13, v2, vcc_lo
	s_delay_alu instid0(VALU_DEP_3) | instskip(NEXT) | instid1(VALU_DEP_1)
	v_add_co_u32 v17, s12, s12, v9
	v_add_co_ci_u32_e64 v18, null, s13, 0, s12
	s_mov_b32 s12, 0
	s_cselect_b32 s13, 1, 2
	s_waitcnt vmcnt(0)
	v_sub_co_u32 v1, vcc_lo, v5, s17
	v_subrev_co_ci_u32_e32 v2, vcc_lo, 0, v6, vcc_lo
	v_sub_co_u32 v3, vcc_lo, v7, s17
	v_cmp_lt_i64_e64 s0, v[5:6], v[7:8]
	v_subrev_co_ci_u32_e32 v4, vcc_lo, 0, v8, vcc_lo
	s_branch .LBB100_9
.LBB100_8:                              ;   in Loop: Header=BB100_9 Depth=1
	s_or_b32 exec_lo, exec_lo, s1
	s_add_i32 s12, s12, 64
	s_delay_alu instid0(SALU_CYCLE_1)
	s_cmp_lt_i32 s12, s22
	s_cbranch_scc0 .LBB100_30
.LBB100_9:                              ; =>This Loop Header: Depth=1
                                        ;     Child Loop BB100_12 Depth 2
                                        ;       Child Loop BB100_16 Depth 3
	v_or_b32_e32 v5, s12, v0
	v_mov_b32_e32 v20, 0
	s_delay_alu instid0(VALU_DEP_2)
	v_ashrrev_i32_e32 v6, 31, v5
	s_and_saveexec_b32 s18, s0
	s_cbranch_execz .LBB100_18
; %bb.10:                               ;   in Loop: Header=BB100_9 Depth=1
	v_add_co_u32 v7, s1, s10, v5
	v_mov_b32_e32 v10, v2
	v_cmp_gt_i32_e32 vcc_lo, s22, v5
	v_add_co_ci_u32_e64 v8, s1, s11, v6, s1
	v_dual_mov_b32 v20, 0 :: v_dual_mov_b32 v9, v1
	s_mov_b32 s19, 0
	s_branch .LBB100_12
.LBB100_11:                             ;   in Loop: Header=BB100_12 Depth=2
	s_or_b32 exec_lo, exec_lo, s1
	v_add_co_u32 v9, s1, v9, 64
	s_delay_alu instid0(VALU_DEP_1) | instskip(NEXT) | instid1(VALU_DEP_1)
	v_add_co_ci_u32_e64 v10, s1, 0, v10, s1
	v_cmp_ge_i64_e64 s1, v[9:10], v[3:4]
	s_delay_alu instid0(VALU_DEP_1) | instskip(NEXT) | instid1(SALU_CYCLE_1)
	s_or_b32 s19, s1, s19
	s_and_not1_b32 exec_lo, exec_lo, s19
	s_cbranch_execz .LBB100_17
.LBB100_12:                             ;   Parent Loop BB100_9 Depth=1
                                        ; =>  This Loop Header: Depth=2
                                        ;       Child Loop BB100_16 Depth 3
	s_delay_alu instid0(VALU_DEP_1) | instskip(NEXT) | instid1(VALU_DEP_1)
	v_add_co_u32 v11, s1, v9, v0
	v_add_co_ci_u32_e64 v12, s1, 0, v10, s1
	v_dual_mov_b32 v22, 0 :: v_dual_mov_b32 v21, 0
	v_mov_b32_e32 v23, 0
	s_mov_b32 s20, exec_lo
	s_delay_alu instid0(VALU_DEP_3)
	v_cmpx_lt_i64_e64 v[11:12], v[3:4]
	s_cbranch_execz .LBB100_14
; %bb.13:                               ;   in Loop: Header=BB100_12 Depth=2
	v_lshlrev_b64 v[11:12], 2, v[11:12]
	s_delay_alu instid0(VALU_DEP_1) | instskip(NEXT) | instid1(VALU_DEP_2)
	v_or_b32_e32 v21, v11, v19
	v_or_b32_e32 v22, 0, v12
	v_add_co_u32 v11, s1, s6, v11
	s_delay_alu instid0(VALU_DEP_1) | instskip(NEXT) | instid1(VALU_DEP_4)
	v_add_co_ci_u32_e64 v12, s1, s7, v12, s1
	v_or_b32_e32 v23, s13, v21
	s_delay_alu instid0(VALU_DEP_4) | instskip(SKIP_2) | instid1(VALU_DEP_1)
	v_or_b32_e32 v24, 0, v22
	global_load_b32 v25, v[11:12], off
	v_add_co_u32 v11, s1, s8, v23
	v_add_co_ci_u32_e64 v12, s1, s9, v24, s1
	v_add_co_u32 v21, s1, s8, v21
	s_delay_alu instid0(VALU_DEP_1)
	v_add_co_ci_u32_e64 v22, s1, s9, v22, s1
	s_clause 0x1
	global_load_i8 v11, v[11:12], off
	global_load_u8 v21, v[21:22], off
	s_waitcnt vmcnt(2)
	v_subrev_nc_u32_e32 v12, s17, v25
	s_delay_alu instid0(VALU_DEP_1)
	v_lshlrev_b32_e32 v22, 1, v12
	s_waitcnt vmcnt(1)
	v_cvt_f32_i32_e32 v23, v11
.LBB100_14:                             ;   in Loop: Header=BB100_12 Depth=2
	s_or_b32 exec_lo, exec_lo, s20
	s_delay_alu instid0(VALU_DEP_1)
	v_cvt_i32_f32_e32 v11, v23
	ds_store_b32 v13, v22
	s_waitcnt vmcnt(0)
	ds_store_b8 v14, v21
	ds_store_b8 v14, v11 offset:1
	s_waitcnt lgkmcnt(0)
	s_waitcnt_vscnt null, 0x0
	s_barrier
	buffer_gl0_inv
	s_and_saveexec_b32 s1, vcc_lo
	s_cbranch_execz .LBB100_11
; %bb.15:                               ;   in Loop: Header=BB100_12 Depth=2
	v_mov_b32_e32 v11, 0x100
	s_mov_b32 s20, 0
.LBB100_16:                             ;   Parent Loop BB100_9 Depth=1
                                        ;     Parent Loop BB100_12 Depth=2
                                        ; =>    This Inner Loop Header: Depth=3
	s_delay_alu instid0(SALU_CYCLE_1)
	v_mov_b32_e32 v12, s20
	s_add_i32 s20, s20, 8
	ds_load_b64 v[21:22], v12
	s_waitcnt lgkmcnt(0)
	v_readfirstlane_b32 s21, v21
	v_readfirstlane_b32 s23, v22
	s_delay_alu instid0(VALU_DEP_2)
	v_mad_u64_u32 v[21:22], null, s21, s4, v[7:8]
	s_ashr_i32 s25, s21, 31
	s_mul_i32 s26, s21, s5
	s_add_i32 s21, s21, 1
	s_mul_i32 s25, s25, s4
	v_mad_u64_u32 v[25:26], null, s21, s4, v[7:8]
	s_delay_alu instid0(VALU_DEP_2)
	v_add3_u32 v22, s26, s25, v22
	s_ashr_i32 s29, s21, 31
	s_ashr_i32 s27, s23, 31
	v_mad_u64_u32 v[23:24], null, s23, s4, v[7:8]
	s_mul_i32 s28, s23, s5
	s_add_i32 s23, s23, 1
	s_mul_i32 s21, s21, s5
	s_mul_i32 s29, s29, s4
	v_mad_u64_u32 v[27:28], null, s23, s4, v[7:8]
	v_add3_u32 v26, s21, s29, v26
	global_load_i8 v12, v[21:22], off
	s_ashr_i32 s21, s23, 31
	s_mul_i32 s27, s27, s4
	s_mul_i32 s23, s23, s5
	global_load_i8 v21, v[25:26], off
	s_mul_i32 s21, s21, s4
	v_add3_u32 v24, s28, s27, v24
	v_add3_u32 v28, s23, s21, v28
	s_clause 0x1
	global_load_i8 v22, v[23:24], off
	global_load_i8 v23, v[27:28], off
	ds_load_u16 v24, v11
	ds_load_i8 v25, v11 offset:3
	ds_load_i8 v26, v11 offset:4
	v_add_nc_u32_e32 v11, 6, v11
	s_cmpk_lg_i32 s20, 0x100
	s_waitcnt lgkmcnt(2)
	v_bfe_i32 v27, v24, 0, 8
	v_ashrrev_i16 v24, 8, v24
	s_delay_alu instid0(VALU_DEP_2) | instskip(NEXT) | instid1(VALU_DEP_2)
	v_bfe_i32 v27, v27, 0, 16
	v_bfe_i32 v24, v24, 0, 16
	s_delay_alu instid0(VALU_DEP_2) | instskip(NEXT) | instid1(VALU_DEP_2)
	v_cvt_f32_i32_e32 v27, v27
	v_cvt_f32_i32_e32 v24, v24
	s_waitcnt vmcnt(3)
	v_cvt_f32_i32_e32 v12, v12
	s_waitcnt vmcnt(2)
	v_cvt_f32_i32_e32 v21, v21
	s_delay_alu instid0(VALU_DEP_2)
	v_fmac_f32_e32 v20, v27, v12
	s_waitcnt lgkmcnt(1)
	v_cvt_f32_i32_e32 v12, v25
	s_waitcnt vmcnt(1)
	v_cvt_f32_i32_e32 v22, v22
	v_fmac_f32_e32 v20, v24, v21
	s_waitcnt lgkmcnt(0)
	v_cvt_f32_i32_e32 v21, v26
	s_waitcnt vmcnt(0)
	v_cvt_f32_i32_e32 v23, v23
	v_fmac_f32_e32 v20, v12, v22
	s_delay_alu instid0(VALU_DEP_1)
	v_fmac_f32_e32 v20, v21, v23
	s_cbranch_scc1 .LBB100_16
	s_branch .LBB100_11
.LBB100_17:                             ;   in Loop: Header=BB100_9 Depth=1
	s_or_b32 exec_lo, exec_lo, s19
.LBB100_18:                             ;   in Loop: Header=BB100_9 Depth=1
	s_delay_alu instid0(SALU_CYCLE_1) | instskip(NEXT) | instid1(SALU_CYCLE_1)
	s_or_b32 exec_lo, exec_lo, s18
	s_mov_b32 s1, exec_lo
	v_cmpx_gt_i32_e64 s22, v5
	s_cbranch_execz .LBB100_8
; %bb.19:                               ;   in Loop: Header=BB100_9 Depth=1
	s_and_b32 vcc_lo, exec_lo, s3
	s_cbranch_vccz .LBB100_25
; %bb.20:                               ;   in Loop: Header=BB100_9 Depth=1
	s_and_b32 vcc_lo, exec_lo, s16
	s_mov_b32 s18, -1
	s_cbranch_vccz .LBB100_22
; %bb.21:                               ;   in Loop: Header=BB100_9 Depth=1
	v_lshlrev_b64 v[7:8], 2, v[5:6]
	v_mul_f32_e32 v10, s2, v20
	s_mov_b32 s18, 0
	s_delay_alu instid0(VALU_DEP_2) | instskip(NEXT) | instid1(VALU_DEP_3)
	v_add_co_u32 v7, vcc_lo, v15, v7
	v_add_co_ci_u32_e32 v8, vcc_lo, v16, v8, vcc_lo
	global_load_b32 v9, v[7:8], off
	s_waitcnt vmcnt(0)
	v_fmac_f32_e32 v10, s24, v9
	global_store_b32 v[7:8], v10, off
.LBB100_22:                             ;   in Loop: Header=BB100_9 Depth=1
	s_and_not1_b32 vcc_lo, exec_lo, s18
	s_cbranch_vccnz .LBB100_24
; %bb.23:                               ;   in Loop: Header=BB100_9 Depth=1
	v_mul_lo_u32 v9, v6, s14
	v_mul_lo_u32 v10, v5, s15
	v_mad_u64_u32 v[7:8], null, v5, s14, 0
	s_delay_alu instid0(VALU_DEP_1) | instskip(SKIP_1) | instid1(VALU_DEP_2)
	v_add3_u32 v8, v8, v10, v9
	v_mul_f32_e32 v10, s2, v20
	v_lshlrev_b64 v[7:8], 2, v[7:8]
	s_delay_alu instid0(VALU_DEP_1) | instskip(NEXT) | instid1(VALU_DEP_2)
	v_add_co_u32 v7, vcc_lo, v17, v7
	v_add_co_ci_u32_e32 v8, vcc_lo, v18, v8, vcc_lo
	global_load_b32 v9, v[7:8], off
	s_waitcnt vmcnt(0)
	v_fmac_f32_e32 v10, s24, v9
	global_store_b32 v[7:8], v10, off
.LBB100_24:                             ;   in Loop: Header=BB100_9 Depth=1
	s_cbranch_execnz .LBB100_8
	s_branch .LBB100_26
.LBB100_25:                             ;   in Loop: Header=BB100_9 Depth=1
.LBB100_26:                             ;   in Loop: Header=BB100_9 Depth=1
	v_mul_f32_e32 v7, s2, v20
	s_and_b32 vcc_lo, exec_lo, s16
	s_mov_b32 s18, -1
	s_cbranch_vccz .LBB100_28
; %bb.27:                               ;   in Loop: Header=BB100_9 Depth=1
	v_lshlrev_b64 v[8:9], 2, v[5:6]
	s_mov_b32 s18, 0
	s_delay_alu instid0(VALU_DEP_1) | instskip(NEXT) | instid1(VALU_DEP_2)
	v_add_co_u32 v8, vcc_lo, v15, v8
	v_add_co_ci_u32_e32 v9, vcc_lo, v16, v9, vcc_lo
	global_store_b32 v[8:9], v7, off
.LBB100_28:                             ;   in Loop: Header=BB100_9 Depth=1
	s_and_not1_b32 vcc_lo, exec_lo, s18
	s_cbranch_vccnz .LBB100_8
; %bb.29:                               ;   in Loop: Header=BB100_9 Depth=1
	v_mul_lo_u32 v6, v6, s14
	v_mul_lo_u32 v10, v5, s15
	v_mad_u64_u32 v[8:9], null, v5, s14, 0
	s_delay_alu instid0(VALU_DEP_1) | instskip(NEXT) | instid1(VALU_DEP_1)
	v_add3_u32 v9, v9, v10, v6
	v_lshlrev_b64 v[5:6], 2, v[8:9]
	s_delay_alu instid0(VALU_DEP_1) | instskip(NEXT) | instid1(VALU_DEP_2)
	v_add_co_u32 v5, vcc_lo, v17, v5
	v_add_co_ci_u32_e32 v6, vcc_lo, v18, v6, vcc_lo
	global_store_b32 v[5:6], v7, off
	s_branch .LBB100_8
.LBB100_30:
	s_nop 0
	s_sendmsg sendmsg(MSG_DEALLOC_VGPRS)
	s_endpgm
	.section	.rodata,"a",@progbits
	.p2align	6, 0x0
	.amdhsa_kernel _ZN9rocsparseL29bsrmmnt_small_blockdim_kernelILj64ELj64ELj2EliaaffEEv20rocsparse_direction_T3_S2_llNS_24const_host_device_scalarIT7_EEPKT2_PKS2_PKT4_PKT5_llS5_PT6_ll16rocsparse_order_21rocsparse_index_base_b
		.amdhsa_group_segment_fixed_size 448
		.amdhsa_private_segment_fixed_size 0
		.amdhsa_kernarg_size 392
		.amdhsa_user_sgpr_count 15
		.amdhsa_user_sgpr_dispatch_ptr 0
		.amdhsa_user_sgpr_queue_ptr 0
		.amdhsa_user_sgpr_kernarg_segment_ptr 1
		.amdhsa_user_sgpr_dispatch_id 0
		.amdhsa_user_sgpr_private_segment_size 0
		.amdhsa_wavefront_size32 1
		.amdhsa_uses_dynamic_stack 0
		.amdhsa_enable_private_segment 0
		.amdhsa_system_sgpr_workgroup_id_x 1
		.amdhsa_system_sgpr_workgroup_id_y 0
		.amdhsa_system_sgpr_workgroup_id_z 0
		.amdhsa_system_sgpr_workgroup_info 0
		.amdhsa_system_vgpr_workitem_id 0
		.amdhsa_next_free_vgpr 29
		.amdhsa_next_free_sgpr 30
		.amdhsa_reserve_vcc 1
		.amdhsa_float_round_mode_32 0
		.amdhsa_float_round_mode_16_64 0
		.amdhsa_float_denorm_mode_32 3
		.amdhsa_float_denorm_mode_16_64 3
		.amdhsa_dx10_clamp 1
		.amdhsa_ieee_mode 1
		.amdhsa_fp16_overflow 0
		.amdhsa_workgroup_processor_mode 1
		.amdhsa_memory_ordered 1
		.amdhsa_forward_progress 0
		.amdhsa_shared_vgpr_count 0
		.amdhsa_exception_fp_ieee_invalid_op 0
		.amdhsa_exception_fp_denorm_src 0
		.amdhsa_exception_fp_ieee_div_zero 0
		.amdhsa_exception_fp_ieee_overflow 0
		.amdhsa_exception_fp_ieee_underflow 0
		.amdhsa_exception_fp_ieee_inexact 0
		.amdhsa_exception_int_div_zero 0
	.end_amdhsa_kernel
	.section	.text._ZN9rocsparseL29bsrmmnt_small_blockdim_kernelILj64ELj64ELj2EliaaffEEv20rocsparse_direction_T3_S2_llNS_24const_host_device_scalarIT7_EEPKT2_PKS2_PKT4_PKT5_llS5_PT6_ll16rocsparse_order_21rocsparse_index_base_b,"axG",@progbits,_ZN9rocsparseL29bsrmmnt_small_blockdim_kernelILj64ELj64ELj2EliaaffEEv20rocsparse_direction_T3_S2_llNS_24const_host_device_scalarIT7_EEPKT2_PKS2_PKT4_PKT5_llS5_PT6_ll16rocsparse_order_21rocsparse_index_base_b,comdat
.Lfunc_end100:
	.size	_ZN9rocsparseL29bsrmmnt_small_blockdim_kernelILj64ELj64ELj2EliaaffEEv20rocsparse_direction_T3_S2_llNS_24const_host_device_scalarIT7_EEPKT2_PKS2_PKT4_PKT5_llS5_PT6_ll16rocsparse_order_21rocsparse_index_base_b, .Lfunc_end100-_ZN9rocsparseL29bsrmmnt_small_blockdim_kernelILj64ELj64ELj2EliaaffEEv20rocsparse_direction_T3_S2_llNS_24const_host_device_scalarIT7_EEPKT2_PKS2_PKT4_PKT5_llS5_PT6_ll16rocsparse_order_21rocsparse_index_base_b
                                        ; -- End function
	.section	.AMDGPU.csdata,"",@progbits
; Kernel info:
; codeLenInByte = 1544
; NumSgprs: 32
; NumVgprs: 29
; ScratchSize: 0
; MemoryBound: 0
; FloatMode: 240
; IeeeMode: 1
; LDSByteSize: 448 bytes/workgroup (compile time only)
; SGPRBlocks: 3
; VGPRBlocks: 3
; NumSGPRsForWavesPerEU: 32
; NumVGPRsForWavesPerEU: 29
; Occupancy: 16
; WaveLimiterHint : 0
; COMPUTE_PGM_RSRC2:SCRATCH_EN: 0
; COMPUTE_PGM_RSRC2:USER_SGPR: 15
; COMPUTE_PGM_RSRC2:TRAP_HANDLER: 0
; COMPUTE_PGM_RSRC2:TGID_X_EN: 1
; COMPUTE_PGM_RSRC2:TGID_Y_EN: 0
; COMPUTE_PGM_RSRC2:TGID_Z_EN: 0
; COMPUTE_PGM_RSRC2:TIDIG_COMP_CNT: 0
	.section	.text._ZN9rocsparseL29bsrmmnt_small_blockdim_kernelILj64ELj8ELj2EllaaffEEv20rocsparse_direction_T3_S2_llNS_24const_host_device_scalarIT7_EEPKT2_PKS2_PKT4_PKT5_llS5_PT6_ll16rocsparse_order_21rocsparse_index_base_b,"axG",@progbits,_ZN9rocsparseL29bsrmmnt_small_blockdim_kernelILj64ELj8ELj2EllaaffEEv20rocsparse_direction_T3_S2_llNS_24const_host_device_scalarIT7_EEPKT2_PKS2_PKT4_PKT5_llS5_PT6_ll16rocsparse_order_21rocsparse_index_base_b,comdat
	.globl	_ZN9rocsparseL29bsrmmnt_small_blockdim_kernelILj64ELj8ELj2EllaaffEEv20rocsparse_direction_T3_S2_llNS_24const_host_device_scalarIT7_EEPKT2_PKS2_PKT4_PKT5_llS5_PT6_ll16rocsparse_order_21rocsparse_index_base_b ; -- Begin function _ZN9rocsparseL29bsrmmnt_small_blockdim_kernelILj64ELj8ELj2EllaaffEEv20rocsparse_direction_T3_S2_llNS_24const_host_device_scalarIT7_EEPKT2_PKS2_PKT4_PKT5_llS5_PT6_ll16rocsparse_order_21rocsparse_index_base_b
	.p2align	8
	.type	_ZN9rocsparseL29bsrmmnt_small_blockdim_kernelILj64ELj8ELj2EllaaffEEv20rocsparse_direction_T3_S2_llNS_24const_host_device_scalarIT7_EEPKT2_PKS2_PKT4_PKT5_llS5_PT6_ll16rocsparse_order_21rocsparse_index_base_b,@function
_ZN9rocsparseL29bsrmmnt_small_blockdim_kernelILj64ELj8ELj2EllaaffEEv20rocsparse_direction_T3_S2_llNS_24const_host_device_scalarIT7_EEPKT2_PKS2_PKT4_PKT5_llS5_PT6_ll16rocsparse_order_21rocsparse_index_base_b: ; @_ZN9rocsparseL29bsrmmnt_small_blockdim_kernelILj64ELj8ELj2EllaaffEEv20rocsparse_direction_T3_S2_llNS_24const_host_device_scalarIT7_EEPKT2_PKS2_PKT4_PKT5_llS5_PT6_ll16rocsparse_order_21rocsparse_index_base_b
; %bb.0:
	s_clause 0x2
	s_load_b128 s[20:23], s[0:1], 0x80
	s_load_b64 s[2:3], s[0:1], 0x28
	s_load_b64 s[24:25], s[0:1], 0x60
	s_waitcnt lgkmcnt(0)
	s_bitcmp1_b32 s22, 0
	s_cselect_b32 s4, -1, 0
	s_delay_alu instid0(SALU_CYCLE_1)
	s_and_b32 vcc_lo, exec_lo, s4
	s_xor_b32 s4, s4, -1
	s_cbranch_vccnz .LBB101_2
; %bb.1:
	s_load_b32 s2, s[2:3], 0x0
.LBB101_2:
	s_and_not1_b32 vcc_lo, exec_lo, s4
	s_cbranch_vccnz .LBB101_4
; %bb.3:
	s_load_b32 s24, s[24:25], 0x0
.LBB101_4:
	s_waitcnt lgkmcnt(0)
	v_cmp_eq_f32_e64 s3, s2, 0
	v_cmp_eq_f32_e64 s4, s24, 1.0
	s_delay_alu instid0(VALU_DEP_1) | instskip(NEXT) | instid1(SALU_CYCLE_1)
	s_and_b32 s3, s3, s4
	s_and_b32 vcc_lo, exec_lo, s3
	s_cbranch_vccnz .LBB101_30
; %bb.5:
	s_clause 0x1
	s_load_b32 s3, s[0:1], 0x9c
	s_load_b128 s[16:19], s[0:1], 0x8
	v_mov_b32_e32 v3, 0
	s_waitcnt lgkmcnt(0)
	s_and_b32 s3, s3, 0xffff
	s_delay_alu instid0(SALU_CYCLE_1) | instskip(SKIP_1) | instid1(VALU_DEP_1)
	v_mad_u64_u32 v[1:2], null, s15, s3, v[0:1]
	s_mov_b32 s3, exec_lo
	v_lshrrev_b32_e32 v2, 4, v1
	s_delay_alu instid0(VALU_DEP_1)
	v_cmpx_gt_i64_e64 s[16:17], v[2:3]
	s_cbranch_execz .LBB101_30
; %bb.6:
	v_cmp_lt_i64_e64 s3, s[18:19], 1
	s_delay_alu instid0(VALU_DEP_1)
	s_and_b32 vcc_lo, exec_lo, s3
	s_cbranch_vccnz .LBB101_30
; %bb.7:
	s_load_b256 s[4:11], s[0:1], 0x30
	v_dual_mov_b32 v5, 0 :: v_dual_lshlrev_b32 v2, 3, v2
	s_load_b128 s[12:15], s[0:1], 0x68
	v_lshrrev_b32_e32 v12, 3, v1
	v_bfe_u32 v4, v1, 3, 1
	v_lshrrev_b32_e32 v1, 3, v0
	s_cmp_lg_u32 s20, 1
	v_cmp_neq_f32_e64 s16, s24, 0
	s_cselect_b32 s17, -1, 0
	s_mov_b32 s3, s21
	v_lshlrev_b32_e32 v17, 6, v1
	s_waitcnt lgkmcnt(0)
	global_load_b128 v[6:9], v2, s[4:5]
	s_clause 0x1
	s_load_b64 s[4:5], s[0:1], 0x50
	s_load_b32 s0, s[0:1], 0x0
	v_mad_u64_u32 v[2:3], null, v12, s14, 0
	s_delay_alu instid0(VALU_DEP_1) | instskip(SKIP_2) | instid1(VALU_DEP_3)
	v_mad_u64_u32 v[10:11], null, v12, s15, v[3:4]
	v_and_b32_e32 v16, 7, v0
	v_mul_u32_u24_e32 v0, 24, v1
	v_mov_b32_e32 v3, v10
	s_delay_alu instid0(VALU_DEP_2)
	v_or_b32_e32 v18, 0x200, v0
	v_lshlrev_b32_e32 v10, 2, v12
	s_waitcnt lgkmcnt(0)
	s_cmp_eq_u32 s0, 0
	v_lshl_or_b32 v19, v16, 3, v17
	v_lshlrev_b64 v[2:3], 2, v[2:3]
	s_cselect_b32 s1, -1, 0
	v_mad_u32_u24 v20, v16, 3, v18
	v_cndmask_b32_e64 v0, 0, 1, s1
	s_and_b32 s1, s1, exec_lo
	s_cselect_b32 s20, 1, 2
	v_add_co_u32 v21, vcc_lo, s12, v2
	v_add_co_ci_u32_e32 v22, vcc_lo, s13, v3, vcc_lo
	v_lshlrev_b64 v[0:1], v0, v[4:5]
	v_add_co_u32 v23, s12, s12, v10
	s_delay_alu instid0(VALU_DEP_1)
	v_add_co_ci_u32_e64 v24, null, s13, 0, s12
	s_mov_b64 s[12:13], 0
	s_waitcnt vmcnt(0)
	v_sub_co_u32 v2, vcc_lo, v6, s21
	v_subrev_co_ci_u32_e32 v3, vcc_lo, 0, v7, vcc_lo
	v_sub_co_u32 v4, vcc_lo, v8, s21
	v_cmp_lt_i64_e64 s0, v[6:7], v[8:9]
	v_subrev_co_ci_u32_e32 v5, vcc_lo, 0, v9, vcc_lo
	s_branch .LBB101_9
.LBB101_8:                              ;   in Loop: Header=BB101_9 Depth=1
	s_or_b32 exec_lo, exec_lo, s1
	s_add_u32 s12, s12, 8
	s_addc_u32 s13, s13, 0
	s_delay_alu instid0(SALU_CYCLE_1) | instskip(NEXT) | instid1(VALU_DEP_1)
	v_cmp_lt_i64_e64 s1, s[12:13], s[18:19]
	s_and_b32 vcc_lo, exec_lo, s1
	s_cbranch_vccz .LBB101_30
.LBB101_9:                              ; =>This Loop Header: Depth=1
                                        ;     Child Loop BB101_12 Depth 2
                                        ;       Child Loop BB101_16 Depth 3
	v_or_b32_e64 v7, s13, 0
	v_or_b32_e32 v6, s12, v16
	v_mov_b32_e32 v25, 0
	s_and_saveexec_b32 s21, s0
	s_cbranch_execz .LBB101_18
; %bb.10:                               ;   in Loop: Header=BB101_9 Depth=1
	s_delay_alu instid0(VALU_DEP_2)
	v_add_co_u32 v8, s1, s10, v6
	v_cmp_gt_i64_e32 vcc_lo, s[18:19], v[6:7]
	v_mov_b32_e32 v11, v3
	v_add_co_ci_u32_e64 v9, s1, s11, v7, s1
	v_dual_mov_b32 v25, 0 :: v_dual_mov_b32 v10, v2
	s_mov_b32 s22, 0
	s_branch .LBB101_12
.LBB101_11:                             ;   in Loop: Header=BB101_12 Depth=2
	s_or_b32 exec_lo, exec_lo, s23
	v_add_co_u32 v10, s1, v10, 8
	s_delay_alu instid0(VALU_DEP_1) | instskip(NEXT) | instid1(VALU_DEP_1)
	v_add_co_ci_u32_e64 v11, s1, 0, v11, s1
	v_cmp_ge_i64_e64 s1, v[10:11], v[4:5]
	s_delay_alu instid0(VALU_DEP_1) | instskip(NEXT) | instid1(SALU_CYCLE_1)
	s_or_b32 s22, s1, s22
	s_and_not1_b32 exec_lo, exec_lo, s22
	s_cbranch_execz .LBB101_17
.LBB101_12:                             ;   Parent Loop BB101_9 Depth=1
                                        ; =>  This Loop Header: Depth=2
                                        ;       Child Loop BB101_16 Depth 3
	s_delay_alu instid0(VALU_DEP_1) | instskip(SKIP_4) | instid1(VALU_DEP_2)
	v_add_co_u32 v12, s1, v10, v16
	v_dual_mov_b32 v14, 0 :: v_dual_mov_b32 v27, 0
	v_add_co_ci_u32_e64 v13, s1, 0, v11, s1
	v_dual_mov_b32 v15, 0 :: v_dual_mov_b32 v26, 0
	s_mov_b32 s23, exec_lo
	v_cmpx_lt_i64_e64 v[12:13], v[4:5]
	s_cbranch_execz .LBB101_14
; %bb.13:                               ;   in Loop: Header=BB101_12 Depth=2
	v_lshlrev_b64 v[14:15], 2, v[12:13]
	v_lshlrev_b64 v[12:13], 3, v[12:13]
	s_delay_alu instid0(VALU_DEP_2) | instskip(NEXT) | instid1(VALU_DEP_3)
	v_or_b32_e32 v26, v14, v0
	v_or_b32_e32 v27, v15, v1
	s_delay_alu instid0(VALU_DEP_3) | instskip(NEXT) | instid1(VALU_DEP_1)
	v_add_co_u32 v12, s1, s6, v12
	v_add_co_ci_u32_e64 v13, s1, s7, v13, s1
	s_delay_alu instid0(VALU_DEP_4) | instskip(NEXT) | instid1(VALU_DEP_4)
	v_or_b32_e32 v14, s20, v26
	v_or_b32_e32 v15, 0, v27
	global_load_b64 v[12:13], v[12:13], off
	v_add_co_u32 v14, s1, s8, v14
	s_delay_alu instid0(VALU_DEP_1) | instskip(SKIP_1) | instid1(VALU_DEP_1)
	v_add_co_ci_u32_e64 v15, s1, s9, v15, s1
	v_add_co_u32 v26, s1, s8, v26
	v_add_co_ci_u32_e64 v27, s1, s9, v27, s1
	s_clause 0x1
	global_load_i8 v28, v[14:15], off
	global_load_u8 v26, v[26:27], off
	s_waitcnt vmcnt(2)
	v_sub_co_u32 v12, s1, v12, s3
	s_delay_alu instid0(VALU_DEP_1) | instskip(NEXT) | instid1(VALU_DEP_1)
	v_subrev_co_ci_u32_e64 v13, s1, 0, v13, s1
	v_lshlrev_b64 v[14:15], 1, v[12:13]
	s_waitcnt vmcnt(1)
	v_cvt_f32_i32_e32 v27, v28
.LBB101_14:                             ;   in Loop: Header=BB101_12 Depth=2
	s_or_b32 exec_lo, exec_lo, s23
	s_delay_alu instid0(VALU_DEP_1)
	v_cvt_i32_f32_e32 v12, v27
	ds_store_b64 v19, v[14:15]
	s_waitcnt vmcnt(0)
	ds_store_b8 v20, v26
	ds_store_b8 v20, v12 offset:1
	s_waitcnt lgkmcnt(0)
	s_waitcnt_vscnt null, 0x0
	s_barrier
	buffer_gl0_inv
	s_and_saveexec_b32 s23, vcc_lo
	s_cbranch_execz .LBB101_11
; %bb.15:                               ;   in Loop: Header=BB101_12 Depth=2
	v_mov_b32_e32 v12, v17
	s_mov_b32 s25, 0
.LBB101_16:                             ;   Parent Loop BB101_9 Depth=1
                                        ;     Parent Loop BB101_12 Depth=2
                                        ; =>    This Inner Loop Header: Depth=3
	ds_load_b128 v[26:29], v12
	v_add_nc_u32_e32 v12, 16, v12
	s_waitcnt lgkmcnt(0)
	v_mad_u64_u32 v[13:14], null, v26, s4, v[8:9]
	v_mul_lo_u32 v15, v26, s5
	v_mul_lo_u32 v30, v27, s4
	v_mad_u64_u32 v[26:27], null, v28, s4, v[8:9]
	v_mul_lo_u32 v31, v28, s5
	v_mul_lo_u32 v32, v29, s4
	v_add_co_u32 v28, s1, v13, s4
	v_add3_u32 v14, v30, v14, v15
	s_delay_alu instid0(VALU_DEP_3) | instskip(SKIP_4) | instid1(VALU_DEP_1)
	v_add3_u32 v27, v32, v27, v31
	global_load_i8 v15, v[13:14], off
	v_add_co_ci_u32_e64 v29, s1, s5, v14, s1
	global_load_i8 v28, v[28:29], off
	v_add_co_u32 v13, s1, v26, s4
	v_add_co_ci_u32_e64 v14, s1, s5, v27, s1
	s_clause 0x1
	global_load_i8 v26, v[26:27], off
	global_load_i8 v13, v[13:14], off
	s_waitcnt vmcnt(3)
	v_cvt_f32_i32_e32 v15, v15
	v_add_nc_u32_e32 v14, s25, v18
	ds_load_u16 v27, v14
	ds_load_i8 v29, v14 offset:3
	ds_load_i8 v14, v14 offset:4
	s_add_i32 s25, s25, 6
	s_delay_alu instid0(SALU_CYCLE_1)
	s_cmp_lg_u32 s25, 24
	s_waitcnt vmcnt(1)
	v_cvt_f32_i32_e32 v26, v26
	s_waitcnt vmcnt(0)
	v_cvt_f32_i32_e32 v13, v13
	s_waitcnt lgkmcnt(2)
	v_bfe_i32 v30, v27, 0, 8
	v_ashrrev_i16 v27, 8, v27
	s_waitcnt lgkmcnt(0)
	v_cvt_f32_i32_e32 v14, v14
	s_delay_alu instid0(VALU_DEP_3) | instskip(NEXT) | instid1(VALU_DEP_3)
	v_bfe_i32 v30, v30, 0, 16
	v_bfe_i32 v27, v27, 0, 16
	s_delay_alu instid0(VALU_DEP_2) | instskip(NEXT) | instid1(VALU_DEP_2)
	v_cvt_f32_i32_e32 v30, v30
	v_cvt_f32_i32_e32 v27, v27
	s_delay_alu instid0(VALU_DEP_2) | instskip(SKIP_2) | instid1(VALU_DEP_2)
	v_fmac_f32_e32 v25, v30, v15
	v_cvt_f32_i32_e32 v15, v28
	v_cvt_f32_i32_e32 v28, v29
	v_fmac_f32_e32 v25, v27, v15
	s_delay_alu instid0(VALU_DEP_1) | instskip(NEXT) | instid1(VALU_DEP_1)
	v_fmac_f32_e32 v25, v28, v26
	v_fmac_f32_e32 v25, v14, v13
	s_cbranch_scc1 .LBB101_16
	s_branch .LBB101_11
.LBB101_17:                             ;   in Loop: Header=BB101_9 Depth=1
	s_or_b32 exec_lo, exec_lo, s22
.LBB101_18:                             ;   in Loop: Header=BB101_9 Depth=1
	s_delay_alu instid0(SALU_CYCLE_1) | instskip(NEXT) | instid1(SALU_CYCLE_1)
	s_or_b32 exec_lo, exec_lo, s21
	s_mov_b32 s1, exec_lo
	v_cmpx_gt_i64_e64 s[18:19], v[6:7]
	s_cbranch_execz .LBB101_8
; %bb.19:                               ;   in Loop: Header=BB101_9 Depth=1
	s_and_b32 vcc_lo, exec_lo, s16
	s_cbranch_vccz .LBB101_25
; %bb.20:                               ;   in Loop: Header=BB101_9 Depth=1
	s_and_b32 vcc_lo, exec_lo, s17
	s_mov_b32 s21, -1
	s_cbranch_vccz .LBB101_22
; %bb.21:                               ;   in Loop: Header=BB101_9 Depth=1
	v_lshlrev_b64 v[8:9], 2, v[6:7]
	v_mul_f32_e32 v11, s2, v25
	s_mov_b32 s21, 0
	s_delay_alu instid0(VALU_DEP_2) | instskip(NEXT) | instid1(VALU_DEP_3)
	v_add_co_u32 v8, vcc_lo, v21, v8
	v_add_co_ci_u32_e32 v9, vcc_lo, v22, v9, vcc_lo
	global_load_b32 v10, v[8:9], off
	s_waitcnt vmcnt(0)
	v_fmac_f32_e32 v11, s24, v10
	global_store_b32 v[8:9], v11, off
.LBB101_22:                             ;   in Loop: Header=BB101_9 Depth=1
	s_and_not1_b32 vcc_lo, exec_lo, s21
	s_cbranch_vccnz .LBB101_24
; %bb.23:                               ;   in Loop: Header=BB101_9 Depth=1
	v_mul_lo_u32 v10, v7, s14
	v_mul_lo_u32 v11, v6, s15
	v_mad_u64_u32 v[8:9], null, v6, s14, 0
	s_delay_alu instid0(VALU_DEP_1) | instskip(SKIP_1) | instid1(VALU_DEP_2)
	v_add3_u32 v9, v9, v11, v10
	v_mul_f32_e32 v11, s2, v25
	v_lshlrev_b64 v[8:9], 2, v[8:9]
	s_delay_alu instid0(VALU_DEP_1) | instskip(NEXT) | instid1(VALU_DEP_2)
	v_add_co_u32 v8, vcc_lo, v23, v8
	v_add_co_ci_u32_e32 v9, vcc_lo, v24, v9, vcc_lo
	global_load_b32 v10, v[8:9], off
	s_waitcnt vmcnt(0)
	v_fmac_f32_e32 v11, s24, v10
	global_store_b32 v[8:9], v11, off
.LBB101_24:                             ;   in Loop: Header=BB101_9 Depth=1
	s_cbranch_execnz .LBB101_8
	s_branch .LBB101_26
.LBB101_25:                             ;   in Loop: Header=BB101_9 Depth=1
.LBB101_26:                             ;   in Loop: Header=BB101_9 Depth=1
	v_mul_f32_e32 v8, s2, v25
	s_and_b32 vcc_lo, exec_lo, s17
	s_mov_b32 s21, -1
	s_cbranch_vccz .LBB101_28
; %bb.27:                               ;   in Loop: Header=BB101_9 Depth=1
	v_lshlrev_b64 v[9:10], 2, v[6:7]
	s_mov_b32 s21, 0
	s_delay_alu instid0(VALU_DEP_1) | instskip(NEXT) | instid1(VALU_DEP_2)
	v_add_co_u32 v9, vcc_lo, v21, v9
	v_add_co_ci_u32_e32 v10, vcc_lo, v22, v10, vcc_lo
	global_store_b32 v[9:10], v8, off
.LBB101_28:                             ;   in Loop: Header=BB101_9 Depth=1
	s_and_not1_b32 vcc_lo, exec_lo, s21
	s_cbranch_vccnz .LBB101_8
; %bb.29:                               ;   in Loop: Header=BB101_9 Depth=1
	v_mul_lo_u32 v7, v7, s14
	v_mul_lo_u32 v11, v6, s15
	v_mad_u64_u32 v[9:10], null, v6, s14, 0
	s_delay_alu instid0(VALU_DEP_1) | instskip(NEXT) | instid1(VALU_DEP_1)
	v_add3_u32 v10, v10, v11, v7
	v_lshlrev_b64 v[6:7], 2, v[9:10]
	s_delay_alu instid0(VALU_DEP_1) | instskip(NEXT) | instid1(VALU_DEP_2)
	v_add_co_u32 v6, vcc_lo, v23, v6
	v_add_co_ci_u32_e32 v7, vcc_lo, v24, v7, vcc_lo
	global_store_b32 v[6:7], v8, off
	s_branch .LBB101_8
.LBB101_30:
	s_nop 0
	s_sendmsg sendmsg(MSG_DEALLOC_VGPRS)
	s_endpgm
	.section	.rodata,"a",@progbits
	.p2align	6, 0x0
	.amdhsa_kernel _ZN9rocsparseL29bsrmmnt_small_blockdim_kernelILj64ELj8ELj2EllaaffEEv20rocsparse_direction_T3_S2_llNS_24const_host_device_scalarIT7_EEPKT2_PKS2_PKT4_PKT5_llS5_PT6_ll16rocsparse_order_21rocsparse_index_base_b
		.amdhsa_group_segment_fixed_size 704
		.amdhsa_private_segment_fixed_size 0
		.amdhsa_kernarg_size 400
		.amdhsa_user_sgpr_count 15
		.amdhsa_user_sgpr_dispatch_ptr 0
		.amdhsa_user_sgpr_queue_ptr 0
		.amdhsa_user_sgpr_kernarg_segment_ptr 1
		.amdhsa_user_sgpr_dispatch_id 0
		.amdhsa_user_sgpr_private_segment_size 0
		.amdhsa_wavefront_size32 1
		.amdhsa_uses_dynamic_stack 0
		.amdhsa_enable_private_segment 0
		.amdhsa_system_sgpr_workgroup_id_x 1
		.amdhsa_system_sgpr_workgroup_id_y 0
		.amdhsa_system_sgpr_workgroup_id_z 0
		.amdhsa_system_sgpr_workgroup_info 0
		.amdhsa_system_vgpr_workitem_id 0
		.amdhsa_next_free_vgpr 33
		.amdhsa_next_free_sgpr 26
		.amdhsa_reserve_vcc 1
		.amdhsa_float_round_mode_32 0
		.amdhsa_float_round_mode_16_64 0
		.amdhsa_float_denorm_mode_32 3
		.amdhsa_float_denorm_mode_16_64 3
		.amdhsa_dx10_clamp 1
		.amdhsa_ieee_mode 1
		.amdhsa_fp16_overflow 0
		.amdhsa_workgroup_processor_mode 1
		.amdhsa_memory_ordered 1
		.amdhsa_forward_progress 0
		.amdhsa_shared_vgpr_count 0
		.amdhsa_exception_fp_ieee_invalid_op 0
		.amdhsa_exception_fp_denorm_src 0
		.amdhsa_exception_fp_ieee_div_zero 0
		.amdhsa_exception_fp_ieee_overflow 0
		.amdhsa_exception_fp_ieee_underflow 0
		.amdhsa_exception_fp_ieee_inexact 0
		.amdhsa_exception_int_div_zero 0
	.end_amdhsa_kernel
	.section	.text._ZN9rocsparseL29bsrmmnt_small_blockdim_kernelILj64ELj8ELj2EllaaffEEv20rocsparse_direction_T3_S2_llNS_24const_host_device_scalarIT7_EEPKT2_PKS2_PKT4_PKT5_llS5_PT6_ll16rocsparse_order_21rocsparse_index_base_b,"axG",@progbits,_ZN9rocsparseL29bsrmmnt_small_blockdim_kernelILj64ELj8ELj2EllaaffEEv20rocsparse_direction_T3_S2_llNS_24const_host_device_scalarIT7_EEPKT2_PKS2_PKT4_PKT5_llS5_PT6_ll16rocsparse_order_21rocsparse_index_base_b,comdat
.Lfunc_end101:
	.size	_ZN9rocsparseL29bsrmmnt_small_blockdim_kernelILj64ELj8ELj2EllaaffEEv20rocsparse_direction_T3_S2_llNS_24const_host_device_scalarIT7_EEPKT2_PKS2_PKT4_PKT5_llS5_PT6_ll16rocsparse_order_21rocsparse_index_base_b, .Lfunc_end101-_ZN9rocsparseL29bsrmmnt_small_blockdim_kernelILj64ELj8ELj2EllaaffEEv20rocsparse_direction_T3_S2_llNS_24const_host_device_scalarIT7_EEPKT2_PKS2_PKT4_PKT5_llS5_PT6_ll16rocsparse_order_21rocsparse_index_base_b
                                        ; -- End function
	.section	.AMDGPU.csdata,"",@progbits
; Kernel info:
; codeLenInByte = 1596
; NumSgprs: 28
; NumVgprs: 33
; ScratchSize: 0
; MemoryBound: 0
; FloatMode: 240
; IeeeMode: 1
; LDSByteSize: 704 bytes/workgroup (compile time only)
; SGPRBlocks: 3
; VGPRBlocks: 4
; NumSGPRsForWavesPerEU: 28
; NumVGPRsForWavesPerEU: 33
; Occupancy: 16
; WaveLimiterHint : 1
; COMPUTE_PGM_RSRC2:SCRATCH_EN: 0
; COMPUTE_PGM_RSRC2:USER_SGPR: 15
; COMPUTE_PGM_RSRC2:TRAP_HANDLER: 0
; COMPUTE_PGM_RSRC2:TGID_X_EN: 1
; COMPUTE_PGM_RSRC2:TGID_Y_EN: 0
; COMPUTE_PGM_RSRC2:TGID_Z_EN: 0
; COMPUTE_PGM_RSRC2:TIDIG_COMP_CNT: 0
	.section	.text._ZN9rocsparseL29bsrmmnt_small_blockdim_kernelILj64ELj16ELj2EllaaffEEv20rocsparse_direction_T3_S2_llNS_24const_host_device_scalarIT7_EEPKT2_PKS2_PKT4_PKT5_llS5_PT6_ll16rocsparse_order_21rocsparse_index_base_b,"axG",@progbits,_ZN9rocsparseL29bsrmmnt_small_blockdim_kernelILj64ELj16ELj2EllaaffEEv20rocsparse_direction_T3_S2_llNS_24const_host_device_scalarIT7_EEPKT2_PKS2_PKT4_PKT5_llS5_PT6_ll16rocsparse_order_21rocsparse_index_base_b,comdat
	.globl	_ZN9rocsparseL29bsrmmnt_small_blockdim_kernelILj64ELj16ELj2EllaaffEEv20rocsparse_direction_T3_S2_llNS_24const_host_device_scalarIT7_EEPKT2_PKS2_PKT4_PKT5_llS5_PT6_ll16rocsparse_order_21rocsparse_index_base_b ; -- Begin function _ZN9rocsparseL29bsrmmnt_small_blockdim_kernelILj64ELj16ELj2EllaaffEEv20rocsparse_direction_T3_S2_llNS_24const_host_device_scalarIT7_EEPKT2_PKS2_PKT4_PKT5_llS5_PT6_ll16rocsparse_order_21rocsparse_index_base_b
	.p2align	8
	.type	_ZN9rocsparseL29bsrmmnt_small_blockdim_kernelILj64ELj16ELj2EllaaffEEv20rocsparse_direction_T3_S2_llNS_24const_host_device_scalarIT7_EEPKT2_PKS2_PKT4_PKT5_llS5_PT6_ll16rocsparse_order_21rocsparse_index_base_b,@function
_ZN9rocsparseL29bsrmmnt_small_blockdim_kernelILj64ELj16ELj2EllaaffEEv20rocsparse_direction_T3_S2_llNS_24const_host_device_scalarIT7_EEPKT2_PKS2_PKT4_PKT5_llS5_PT6_ll16rocsparse_order_21rocsparse_index_base_b: ; @_ZN9rocsparseL29bsrmmnt_small_blockdim_kernelILj64ELj16ELj2EllaaffEEv20rocsparse_direction_T3_S2_llNS_24const_host_device_scalarIT7_EEPKT2_PKS2_PKT4_PKT5_llS5_PT6_ll16rocsparse_order_21rocsparse_index_base_b
; %bb.0:
	s_clause 0x2
	s_load_b128 s[20:23], s[0:1], 0x80
	s_load_b64 s[2:3], s[0:1], 0x28
	s_load_b64 s[24:25], s[0:1], 0x60
	s_waitcnt lgkmcnt(0)
	s_bitcmp1_b32 s22, 0
	s_cselect_b32 s4, -1, 0
	s_delay_alu instid0(SALU_CYCLE_1)
	s_and_b32 vcc_lo, exec_lo, s4
	s_xor_b32 s4, s4, -1
	s_cbranch_vccnz .LBB102_2
; %bb.1:
	s_load_b32 s2, s[2:3], 0x0
.LBB102_2:
	s_and_not1_b32 vcc_lo, exec_lo, s4
	s_cbranch_vccnz .LBB102_4
; %bb.3:
	s_load_b32 s24, s[24:25], 0x0
.LBB102_4:
	s_waitcnt lgkmcnt(0)
	v_cmp_eq_f32_e64 s3, s2, 0
	v_cmp_eq_f32_e64 s4, s24, 1.0
	s_delay_alu instid0(VALU_DEP_1) | instskip(NEXT) | instid1(SALU_CYCLE_1)
	s_and_b32 s3, s3, s4
	s_and_b32 vcc_lo, exec_lo, s3
	s_cbranch_vccnz .LBB102_30
; %bb.5:
	s_clause 0x1
	s_load_b32 s3, s[0:1], 0x9c
	s_load_b128 s[16:19], s[0:1], 0x8
	v_mov_b32_e32 v3, 0
	s_waitcnt lgkmcnt(0)
	s_and_b32 s3, s3, 0xffff
	s_delay_alu instid0(SALU_CYCLE_1) | instskip(SKIP_1) | instid1(VALU_DEP_1)
	v_mad_u64_u32 v[1:2], null, s15, s3, v[0:1]
	s_mov_b32 s3, exec_lo
	v_lshrrev_b32_e32 v2, 5, v1
	s_delay_alu instid0(VALU_DEP_1)
	v_cmpx_gt_i64_e64 s[16:17], v[2:3]
	s_cbranch_execz .LBB102_30
; %bb.6:
	v_cmp_lt_i64_e64 s3, s[18:19], 1
	s_delay_alu instid0(VALU_DEP_1)
	s_and_b32 vcc_lo, exec_lo, s3
	s_cbranch_vccnz .LBB102_30
; %bb.7:
	s_load_b256 s[4:11], s[0:1], 0x30
	v_dual_mov_b32 v5, 0 :: v_dual_lshlrev_b32 v2, 3, v2
	s_load_b128 s[12:15], s[0:1], 0x68
	v_lshrrev_b32_e32 v12, 4, v1
	v_bfe_u32 v4, v1, 4, 1
	v_lshrrev_b32_e32 v1, 4, v0
	s_cmp_lg_u32 s20, 1
	v_cmp_neq_f32_e64 s16, s24, 0
	s_cselect_b32 s17, -1, 0
	s_mov_b32 s3, s21
	v_lshlrev_b32_e32 v17, 7, v1
	s_waitcnt lgkmcnt(0)
	global_load_b128 v[6:9], v2, s[4:5]
	s_clause 0x1
	s_load_b64 s[4:5], s[0:1], 0x50
	s_load_b32 s0, s[0:1], 0x0
	v_mad_u64_u32 v[2:3], null, v12, s14, 0
	s_delay_alu instid0(VALU_DEP_1) | instskip(SKIP_2) | instid1(VALU_DEP_3)
	v_mad_u64_u32 v[10:11], null, v12, s15, v[3:4]
	v_and_b32_e32 v16, 15, v0
	v_mul_u32_u24_e32 v0, 48, v1
	v_mov_b32_e32 v3, v10
	s_delay_alu instid0(VALU_DEP_2)
	v_or_b32_e32 v18, 0x200, v0
	v_lshlrev_b32_e32 v10, 2, v12
	s_waitcnt lgkmcnt(0)
	s_cmp_eq_u32 s0, 0
	v_lshl_or_b32 v19, v16, 3, v17
	v_lshlrev_b64 v[2:3], 2, v[2:3]
	s_cselect_b32 s1, -1, 0
	v_mad_u32_u24 v20, v16, 3, v18
	v_cndmask_b32_e64 v0, 0, 1, s1
	s_and_b32 s1, s1, exec_lo
	s_cselect_b32 s20, 1, 2
	v_add_co_u32 v21, vcc_lo, s12, v2
	v_add_co_ci_u32_e32 v22, vcc_lo, s13, v3, vcc_lo
	v_lshlrev_b64 v[0:1], v0, v[4:5]
	v_add_co_u32 v23, s12, s12, v10
	s_delay_alu instid0(VALU_DEP_1)
	v_add_co_ci_u32_e64 v24, null, s13, 0, s12
	s_mov_b64 s[12:13], 0
	s_waitcnt vmcnt(0)
	v_sub_co_u32 v2, vcc_lo, v6, s21
	v_subrev_co_ci_u32_e32 v3, vcc_lo, 0, v7, vcc_lo
	v_sub_co_u32 v4, vcc_lo, v8, s21
	v_cmp_lt_i64_e64 s0, v[6:7], v[8:9]
	v_subrev_co_ci_u32_e32 v5, vcc_lo, 0, v9, vcc_lo
	s_branch .LBB102_9
.LBB102_8:                              ;   in Loop: Header=BB102_9 Depth=1
	s_or_b32 exec_lo, exec_lo, s1
	s_add_u32 s12, s12, 16
	s_addc_u32 s13, s13, 0
	s_delay_alu instid0(SALU_CYCLE_1) | instskip(NEXT) | instid1(VALU_DEP_1)
	v_cmp_lt_i64_e64 s1, s[12:13], s[18:19]
	s_and_b32 vcc_lo, exec_lo, s1
	s_cbranch_vccz .LBB102_30
.LBB102_9:                              ; =>This Loop Header: Depth=1
                                        ;     Child Loop BB102_12 Depth 2
                                        ;       Child Loop BB102_16 Depth 3
	v_or_b32_e64 v7, s13, 0
	v_or_b32_e32 v6, s12, v16
	v_mov_b32_e32 v25, 0
	s_and_saveexec_b32 s21, s0
	s_cbranch_execz .LBB102_18
; %bb.10:                               ;   in Loop: Header=BB102_9 Depth=1
	s_delay_alu instid0(VALU_DEP_2)
	v_add_co_u32 v8, s1, s10, v6
	v_cmp_gt_i64_e32 vcc_lo, s[18:19], v[6:7]
	v_mov_b32_e32 v11, v3
	v_add_co_ci_u32_e64 v9, s1, s11, v7, s1
	v_dual_mov_b32 v25, 0 :: v_dual_mov_b32 v10, v2
	s_mov_b32 s22, 0
	s_branch .LBB102_12
.LBB102_11:                             ;   in Loop: Header=BB102_12 Depth=2
	s_or_b32 exec_lo, exec_lo, s23
	v_add_co_u32 v10, s1, v10, 16
	s_delay_alu instid0(VALU_DEP_1) | instskip(NEXT) | instid1(VALU_DEP_1)
	v_add_co_ci_u32_e64 v11, s1, 0, v11, s1
	v_cmp_ge_i64_e64 s1, v[10:11], v[4:5]
	s_delay_alu instid0(VALU_DEP_1) | instskip(NEXT) | instid1(SALU_CYCLE_1)
	s_or_b32 s22, s1, s22
	s_and_not1_b32 exec_lo, exec_lo, s22
	s_cbranch_execz .LBB102_17
.LBB102_12:                             ;   Parent Loop BB102_9 Depth=1
                                        ; =>  This Loop Header: Depth=2
                                        ;       Child Loop BB102_16 Depth 3
	s_delay_alu instid0(VALU_DEP_1) | instskip(SKIP_4) | instid1(VALU_DEP_2)
	v_add_co_u32 v12, s1, v10, v16
	v_dual_mov_b32 v14, 0 :: v_dual_mov_b32 v27, 0
	v_add_co_ci_u32_e64 v13, s1, 0, v11, s1
	v_dual_mov_b32 v15, 0 :: v_dual_mov_b32 v26, 0
	s_mov_b32 s23, exec_lo
	v_cmpx_lt_i64_e64 v[12:13], v[4:5]
	s_cbranch_execz .LBB102_14
; %bb.13:                               ;   in Loop: Header=BB102_12 Depth=2
	v_lshlrev_b64 v[14:15], 2, v[12:13]
	v_lshlrev_b64 v[12:13], 3, v[12:13]
	s_delay_alu instid0(VALU_DEP_2) | instskip(NEXT) | instid1(VALU_DEP_3)
	v_or_b32_e32 v26, v14, v0
	v_or_b32_e32 v27, v15, v1
	s_delay_alu instid0(VALU_DEP_3) | instskip(NEXT) | instid1(VALU_DEP_1)
	v_add_co_u32 v12, s1, s6, v12
	v_add_co_ci_u32_e64 v13, s1, s7, v13, s1
	s_delay_alu instid0(VALU_DEP_4) | instskip(NEXT) | instid1(VALU_DEP_4)
	v_or_b32_e32 v14, s20, v26
	v_or_b32_e32 v15, 0, v27
	global_load_b64 v[12:13], v[12:13], off
	v_add_co_u32 v14, s1, s8, v14
	s_delay_alu instid0(VALU_DEP_1) | instskip(SKIP_1) | instid1(VALU_DEP_1)
	v_add_co_ci_u32_e64 v15, s1, s9, v15, s1
	v_add_co_u32 v26, s1, s8, v26
	v_add_co_ci_u32_e64 v27, s1, s9, v27, s1
	s_clause 0x1
	global_load_i8 v28, v[14:15], off
	global_load_u8 v26, v[26:27], off
	s_waitcnt vmcnt(2)
	v_sub_co_u32 v12, s1, v12, s3
	s_delay_alu instid0(VALU_DEP_1) | instskip(NEXT) | instid1(VALU_DEP_1)
	v_subrev_co_ci_u32_e64 v13, s1, 0, v13, s1
	v_lshlrev_b64 v[14:15], 1, v[12:13]
	s_waitcnt vmcnt(1)
	v_cvt_f32_i32_e32 v27, v28
.LBB102_14:                             ;   in Loop: Header=BB102_12 Depth=2
	s_or_b32 exec_lo, exec_lo, s23
	s_delay_alu instid0(VALU_DEP_1)
	v_cvt_i32_f32_e32 v12, v27
	ds_store_b64 v19, v[14:15]
	s_waitcnt vmcnt(0)
	ds_store_b8 v20, v26
	ds_store_b8 v20, v12 offset:1
	s_waitcnt lgkmcnt(0)
	s_waitcnt_vscnt null, 0x0
	s_barrier
	buffer_gl0_inv
	s_and_saveexec_b32 s23, vcc_lo
	s_cbranch_execz .LBB102_11
; %bb.15:                               ;   in Loop: Header=BB102_12 Depth=2
	v_mov_b32_e32 v12, v17
	s_mov_b32 s25, 0
.LBB102_16:                             ;   Parent Loop BB102_9 Depth=1
                                        ;     Parent Loop BB102_12 Depth=2
                                        ; =>    This Inner Loop Header: Depth=3
	ds_load_b128 v[26:29], v12
	v_add_nc_u32_e32 v12, 16, v12
	s_waitcnt lgkmcnt(0)
	v_mad_u64_u32 v[13:14], null, v26, s4, v[8:9]
	v_mul_lo_u32 v15, v26, s5
	v_mul_lo_u32 v30, v27, s4
	v_mad_u64_u32 v[26:27], null, v28, s4, v[8:9]
	v_mul_lo_u32 v31, v28, s5
	v_mul_lo_u32 v32, v29, s4
	v_add_co_u32 v28, s1, v13, s4
	v_add3_u32 v14, v30, v14, v15
	s_delay_alu instid0(VALU_DEP_3) | instskip(SKIP_4) | instid1(VALU_DEP_1)
	v_add3_u32 v27, v32, v27, v31
	global_load_i8 v15, v[13:14], off
	v_add_co_ci_u32_e64 v29, s1, s5, v14, s1
	global_load_i8 v28, v[28:29], off
	v_add_co_u32 v13, s1, v26, s4
	v_add_co_ci_u32_e64 v14, s1, s5, v27, s1
	s_clause 0x1
	global_load_i8 v26, v[26:27], off
	global_load_i8 v13, v[13:14], off
	s_waitcnt vmcnt(3)
	v_cvt_f32_i32_e32 v15, v15
	v_add_nc_u32_e32 v14, s25, v18
	ds_load_u16 v27, v14
	ds_load_i8 v29, v14 offset:3
	ds_load_i8 v14, v14 offset:4
	s_add_i32 s25, s25, 6
	s_delay_alu instid0(SALU_CYCLE_1)
	s_cmp_lg_u32 s25, 48
	s_waitcnt vmcnt(1)
	v_cvt_f32_i32_e32 v26, v26
	s_waitcnt vmcnt(0)
	v_cvt_f32_i32_e32 v13, v13
	s_waitcnt lgkmcnt(2)
	v_bfe_i32 v30, v27, 0, 8
	v_ashrrev_i16 v27, 8, v27
	s_waitcnt lgkmcnt(0)
	v_cvt_f32_i32_e32 v14, v14
	s_delay_alu instid0(VALU_DEP_3) | instskip(NEXT) | instid1(VALU_DEP_3)
	v_bfe_i32 v30, v30, 0, 16
	v_bfe_i32 v27, v27, 0, 16
	s_delay_alu instid0(VALU_DEP_2) | instskip(NEXT) | instid1(VALU_DEP_2)
	v_cvt_f32_i32_e32 v30, v30
	v_cvt_f32_i32_e32 v27, v27
	s_delay_alu instid0(VALU_DEP_2) | instskip(SKIP_2) | instid1(VALU_DEP_2)
	v_fmac_f32_e32 v25, v30, v15
	v_cvt_f32_i32_e32 v15, v28
	v_cvt_f32_i32_e32 v28, v29
	v_fmac_f32_e32 v25, v27, v15
	s_delay_alu instid0(VALU_DEP_1) | instskip(NEXT) | instid1(VALU_DEP_1)
	v_fmac_f32_e32 v25, v28, v26
	v_fmac_f32_e32 v25, v14, v13
	s_cbranch_scc1 .LBB102_16
	s_branch .LBB102_11
.LBB102_17:                             ;   in Loop: Header=BB102_9 Depth=1
	s_or_b32 exec_lo, exec_lo, s22
.LBB102_18:                             ;   in Loop: Header=BB102_9 Depth=1
	s_delay_alu instid0(SALU_CYCLE_1) | instskip(NEXT) | instid1(SALU_CYCLE_1)
	s_or_b32 exec_lo, exec_lo, s21
	s_mov_b32 s1, exec_lo
	v_cmpx_gt_i64_e64 s[18:19], v[6:7]
	s_cbranch_execz .LBB102_8
; %bb.19:                               ;   in Loop: Header=BB102_9 Depth=1
	s_and_b32 vcc_lo, exec_lo, s16
	s_cbranch_vccz .LBB102_25
; %bb.20:                               ;   in Loop: Header=BB102_9 Depth=1
	s_and_b32 vcc_lo, exec_lo, s17
	s_mov_b32 s21, -1
	s_cbranch_vccz .LBB102_22
; %bb.21:                               ;   in Loop: Header=BB102_9 Depth=1
	v_lshlrev_b64 v[8:9], 2, v[6:7]
	v_mul_f32_e32 v11, s2, v25
	s_mov_b32 s21, 0
	s_delay_alu instid0(VALU_DEP_2) | instskip(NEXT) | instid1(VALU_DEP_3)
	v_add_co_u32 v8, vcc_lo, v21, v8
	v_add_co_ci_u32_e32 v9, vcc_lo, v22, v9, vcc_lo
	global_load_b32 v10, v[8:9], off
	s_waitcnt vmcnt(0)
	v_fmac_f32_e32 v11, s24, v10
	global_store_b32 v[8:9], v11, off
.LBB102_22:                             ;   in Loop: Header=BB102_9 Depth=1
	s_and_not1_b32 vcc_lo, exec_lo, s21
	s_cbranch_vccnz .LBB102_24
; %bb.23:                               ;   in Loop: Header=BB102_9 Depth=1
	v_mul_lo_u32 v10, v7, s14
	v_mul_lo_u32 v11, v6, s15
	v_mad_u64_u32 v[8:9], null, v6, s14, 0
	s_delay_alu instid0(VALU_DEP_1) | instskip(SKIP_1) | instid1(VALU_DEP_2)
	v_add3_u32 v9, v9, v11, v10
	v_mul_f32_e32 v11, s2, v25
	v_lshlrev_b64 v[8:9], 2, v[8:9]
	s_delay_alu instid0(VALU_DEP_1) | instskip(NEXT) | instid1(VALU_DEP_2)
	v_add_co_u32 v8, vcc_lo, v23, v8
	v_add_co_ci_u32_e32 v9, vcc_lo, v24, v9, vcc_lo
	global_load_b32 v10, v[8:9], off
	s_waitcnt vmcnt(0)
	v_fmac_f32_e32 v11, s24, v10
	global_store_b32 v[8:9], v11, off
.LBB102_24:                             ;   in Loop: Header=BB102_9 Depth=1
	s_cbranch_execnz .LBB102_8
	s_branch .LBB102_26
.LBB102_25:                             ;   in Loop: Header=BB102_9 Depth=1
.LBB102_26:                             ;   in Loop: Header=BB102_9 Depth=1
	v_mul_f32_e32 v8, s2, v25
	s_and_b32 vcc_lo, exec_lo, s17
	s_mov_b32 s21, -1
	s_cbranch_vccz .LBB102_28
; %bb.27:                               ;   in Loop: Header=BB102_9 Depth=1
	v_lshlrev_b64 v[9:10], 2, v[6:7]
	s_mov_b32 s21, 0
	s_delay_alu instid0(VALU_DEP_1) | instskip(NEXT) | instid1(VALU_DEP_2)
	v_add_co_u32 v9, vcc_lo, v21, v9
	v_add_co_ci_u32_e32 v10, vcc_lo, v22, v10, vcc_lo
	global_store_b32 v[9:10], v8, off
.LBB102_28:                             ;   in Loop: Header=BB102_9 Depth=1
	s_and_not1_b32 vcc_lo, exec_lo, s21
	s_cbranch_vccnz .LBB102_8
; %bb.29:                               ;   in Loop: Header=BB102_9 Depth=1
	v_mul_lo_u32 v7, v7, s14
	v_mul_lo_u32 v11, v6, s15
	v_mad_u64_u32 v[9:10], null, v6, s14, 0
	s_delay_alu instid0(VALU_DEP_1) | instskip(NEXT) | instid1(VALU_DEP_1)
	v_add3_u32 v10, v10, v11, v7
	v_lshlrev_b64 v[6:7], 2, v[9:10]
	s_delay_alu instid0(VALU_DEP_1) | instskip(NEXT) | instid1(VALU_DEP_2)
	v_add_co_u32 v6, vcc_lo, v23, v6
	v_add_co_ci_u32_e32 v7, vcc_lo, v24, v7, vcc_lo
	global_store_b32 v[6:7], v8, off
	s_branch .LBB102_8
.LBB102_30:
	s_nop 0
	s_sendmsg sendmsg(MSG_DEALLOC_VGPRS)
	s_endpgm
	.section	.rodata,"a",@progbits
	.p2align	6, 0x0
	.amdhsa_kernel _ZN9rocsparseL29bsrmmnt_small_blockdim_kernelILj64ELj16ELj2EllaaffEEv20rocsparse_direction_T3_S2_llNS_24const_host_device_scalarIT7_EEPKT2_PKS2_PKT4_PKT5_llS5_PT6_ll16rocsparse_order_21rocsparse_index_base_b
		.amdhsa_group_segment_fixed_size 704
		.amdhsa_private_segment_fixed_size 0
		.amdhsa_kernarg_size 400
		.amdhsa_user_sgpr_count 15
		.amdhsa_user_sgpr_dispatch_ptr 0
		.amdhsa_user_sgpr_queue_ptr 0
		.amdhsa_user_sgpr_kernarg_segment_ptr 1
		.amdhsa_user_sgpr_dispatch_id 0
		.amdhsa_user_sgpr_private_segment_size 0
		.amdhsa_wavefront_size32 1
		.amdhsa_uses_dynamic_stack 0
		.amdhsa_enable_private_segment 0
		.amdhsa_system_sgpr_workgroup_id_x 1
		.amdhsa_system_sgpr_workgroup_id_y 0
		.amdhsa_system_sgpr_workgroup_id_z 0
		.amdhsa_system_sgpr_workgroup_info 0
		.amdhsa_system_vgpr_workitem_id 0
		.amdhsa_next_free_vgpr 33
		.amdhsa_next_free_sgpr 26
		.amdhsa_reserve_vcc 1
		.amdhsa_float_round_mode_32 0
		.amdhsa_float_round_mode_16_64 0
		.amdhsa_float_denorm_mode_32 3
		.amdhsa_float_denorm_mode_16_64 3
		.amdhsa_dx10_clamp 1
		.amdhsa_ieee_mode 1
		.amdhsa_fp16_overflow 0
		.amdhsa_workgroup_processor_mode 1
		.amdhsa_memory_ordered 1
		.amdhsa_forward_progress 0
		.amdhsa_shared_vgpr_count 0
		.amdhsa_exception_fp_ieee_invalid_op 0
		.amdhsa_exception_fp_denorm_src 0
		.amdhsa_exception_fp_ieee_div_zero 0
		.amdhsa_exception_fp_ieee_overflow 0
		.amdhsa_exception_fp_ieee_underflow 0
		.amdhsa_exception_fp_ieee_inexact 0
		.amdhsa_exception_int_div_zero 0
	.end_amdhsa_kernel
	.section	.text._ZN9rocsparseL29bsrmmnt_small_blockdim_kernelILj64ELj16ELj2EllaaffEEv20rocsparse_direction_T3_S2_llNS_24const_host_device_scalarIT7_EEPKT2_PKS2_PKT4_PKT5_llS5_PT6_ll16rocsparse_order_21rocsparse_index_base_b,"axG",@progbits,_ZN9rocsparseL29bsrmmnt_small_blockdim_kernelILj64ELj16ELj2EllaaffEEv20rocsparse_direction_T3_S2_llNS_24const_host_device_scalarIT7_EEPKT2_PKS2_PKT4_PKT5_llS5_PT6_ll16rocsparse_order_21rocsparse_index_base_b,comdat
.Lfunc_end102:
	.size	_ZN9rocsparseL29bsrmmnt_small_blockdim_kernelILj64ELj16ELj2EllaaffEEv20rocsparse_direction_T3_S2_llNS_24const_host_device_scalarIT7_EEPKT2_PKS2_PKT4_PKT5_llS5_PT6_ll16rocsparse_order_21rocsparse_index_base_b, .Lfunc_end102-_ZN9rocsparseL29bsrmmnt_small_blockdim_kernelILj64ELj16ELj2EllaaffEEv20rocsparse_direction_T3_S2_llNS_24const_host_device_scalarIT7_EEPKT2_PKS2_PKT4_PKT5_llS5_PT6_ll16rocsparse_order_21rocsparse_index_base_b
                                        ; -- End function
	.section	.AMDGPU.csdata,"",@progbits
; Kernel info:
; codeLenInByte = 1596
; NumSgprs: 28
; NumVgprs: 33
; ScratchSize: 0
; MemoryBound: 0
; FloatMode: 240
; IeeeMode: 1
; LDSByteSize: 704 bytes/workgroup (compile time only)
; SGPRBlocks: 3
; VGPRBlocks: 4
; NumSGPRsForWavesPerEU: 28
; NumVGPRsForWavesPerEU: 33
; Occupancy: 16
; WaveLimiterHint : 1
; COMPUTE_PGM_RSRC2:SCRATCH_EN: 0
; COMPUTE_PGM_RSRC2:USER_SGPR: 15
; COMPUTE_PGM_RSRC2:TRAP_HANDLER: 0
; COMPUTE_PGM_RSRC2:TGID_X_EN: 1
; COMPUTE_PGM_RSRC2:TGID_Y_EN: 0
; COMPUTE_PGM_RSRC2:TGID_Z_EN: 0
; COMPUTE_PGM_RSRC2:TIDIG_COMP_CNT: 0
	.section	.text._ZN9rocsparseL29bsrmmnt_small_blockdim_kernelILj64ELj32ELj2EllaaffEEv20rocsparse_direction_T3_S2_llNS_24const_host_device_scalarIT7_EEPKT2_PKS2_PKT4_PKT5_llS5_PT6_ll16rocsparse_order_21rocsparse_index_base_b,"axG",@progbits,_ZN9rocsparseL29bsrmmnt_small_blockdim_kernelILj64ELj32ELj2EllaaffEEv20rocsparse_direction_T3_S2_llNS_24const_host_device_scalarIT7_EEPKT2_PKS2_PKT4_PKT5_llS5_PT6_ll16rocsparse_order_21rocsparse_index_base_b,comdat
	.globl	_ZN9rocsparseL29bsrmmnt_small_blockdim_kernelILj64ELj32ELj2EllaaffEEv20rocsparse_direction_T3_S2_llNS_24const_host_device_scalarIT7_EEPKT2_PKS2_PKT4_PKT5_llS5_PT6_ll16rocsparse_order_21rocsparse_index_base_b ; -- Begin function _ZN9rocsparseL29bsrmmnt_small_blockdim_kernelILj64ELj32ELj2EllaaffEEv20rocsparse_direction_T3_S2_llNS_24const_host_device_scalarIT7_EEPKT2_PKS2_PKT4_PKT5_llS5_PT6_ll16rocsparse_order_21rocsparse_index_base_b
	.p2align	8
	.type	_ZN9rocsparseL29bsrmmnt_small_blockdim_kernelILj64ELj32ELj2EllaaffEEv20rocsparse_direction_T3_S2_llNS_24const_host_device_scalarIT7_EEPKT2_PKS2_PKT4_PKT5_llS5_PT6_ll16rocsparse_order_21rocsparse_index_base_b,@function
_ZN9rocsparseL29bsrmmnt_small_blockdim_kernelILj64ELj32ELj2EllaaffEEv20rocsparse_direction_T3_S2_llNS_24const_host_device_scalarIT7_EEPKT2_PKS2_PKT4_PKT5_llS5_PT6_ll16rocsparse_order_21rocsparse_index_base_b: ; @_ZN9rocsparseL29bsrmmnt_small_blockdim_kernelILj64ELj32ELj2EllaaffEEv20rocsparse_direction_T3_S2_llNS_24const_host_device_scalarIT7_EEPKT2_PKS2_PKT4_PKT5_llS5_PT6_ll16rocsparse_order_21rocsparse_index_base_b
; %bb.0:
	s_clause 0x2
	s_load_b128 s[20:23], s[0:1], 0x80
	s_load_b64 s[2:3], s[0:1], 0x28
	s_load_b64 s[24:25], s[0:1], 0x60
	s_waitcnt lgkmcnt(0)
	s_bitcmp1_b32 s22, 0
	s_cselect_b32 s4, -1, 0
	s_delay_alu instid0(SALU_CYCLE_1)
	s_and_b32 vcc_lo, exec_lo, s4
	s_xor_b32 s4, s4, -1
	s_cbranch_vccnz .LBB103_2
; %bb.1:
	s_load_b32 s2, s[2:3], 0x0
.LBB103_2:
	s_and_not1_b32 vcc_lo, exec_lo, s4
	s_cbranch_vccnz .LBB103_4
; %bb.3:
	s_load_b32 s24, s[24:25], 0x0
.LBB103_4:
	s_waitcnt lgkmcnt(0)
	v_cmp_eq_f32_e64 s3, s2, 0
	v_cmp_eq_f32_e64 s4, s24, 1.0
	s_delay_alu instid0(VALU_DEP_1) | instskip(NEXT) | instid1(SALU_CYCLE_1)
	s_and_b32 s3, s3, s4
	s_and_b32 vcc_lo, exec_lo, s3
	s_cbranch_vccnz .LBB103_30
; %bb.5:
	s_clause 0x1
	s_load_b32 s3, s[0:1], 0x9c
	s_load_b128 s[16:19], s[0:1], 0x8
	v_mov_b32_e32 v3, 0
	s_waitcnt lgkmcnt(0)
	s_and_b32 s3, s3, 0xffff
	s_delay_alu instid0(SALU_CYCLE_1) | instskip(SKIP_1) | instid1(VALU_DEP_1)
	v_mad_u64_u32 v[1:2], null, s15, s3, v[0:1]
	s_mov_b32 s3, exec_lo
	v_lshrrev_b32_e32 v2, 6, v1
	s_delay_alu instid0(VALU_DEP_1)
	v_cmpx_gt_i64_e64 s[16:17], v[2:3]
	s_cbranch_execz .LBB103_30
; %bb.6:
	v_cmp_lt_i64_e64 s3, s[18:19], 1
	s_delay_alu instid0(VALU_DEP_1)
	s_and_b32 vcc_lo, exec_lo, s3
	s_cbranch_vccnz .LBB103_30
; %bb.7:
	s_load_b256 s[4:11], s[0:1], 0x30
	v_dual_mov_b32 v5, 0 :: v_dual_lshlrev_b32 v2, 3, v2
	s_load_b128 s[12:15], s[0:1], 0x68
	v_lshrrev_b32_e32 v12, 5, v1
	v_bfe_u32 v4, v1, 5, 1
	v_lshrrev_b32_e32 v1, 5, v0
	s_cmp_lg_u32 s20, 1
	v_cmp_neq_f32_e64 s16, s24, 0
	s_cselect_b32 s17, -1, 0
	s_mov_b32 s3, s21
	v_lshlrev_b32_e32 v17, 8, v1
	s_waitcnt lgkmcnt(0)
	global_load_b128 v[6:9], v2, s[4:5]
	s_clause 0x1
	s_load_b64 s[4:5], s[0:1], 0x50
	s_load_b32 s0, s[0:1], 0x0
	v_mad_u64_u32 v[2:3], null, v12, s14, 0
	s_delay_alu instid0(VALU_DEP_1) | instskip(SKIP_2) | instid1(VALU_DEP_3)
	v_mad_u64_u32 v[10:11], null, v12, s15, v[3:4]
	v_and_b32_e32 v16, 31, v0
	v_mul_u32_u24_e32 v0, 0x60, v1
	v_mov_b32_e32 v3, v10
	s_delay_alu instid0(VALU_DEP_2)
	v_or_b32_e32 v18, 0x200, v0
	v_lshlrev_b32_e32 v10, 2, v12
	s_waitcnt lgkmcnt(0)
	s_cmp_eq_u32 s0, 0
	v_lshl_or_b32 v19, v16, 3, v17
	v_lshlrev_b64 v[2:3], 2, v[2:3]
	s_cselect_b32 s1, -1, 0
	v_mad_u32_u24 v20, v16, 3, v18
	v_cndmask_b32_e64 v0, 0, 1, s1
	s_and_b32 s1, s1, exec_lo
	s_cselect_b32 s20, 1, 2
	v_add_co_u32 v21, vcc_lo, s12, v2
	v_add_co_ci_u32_e32 v22, vcc_lo, s13, v3, vcc_lo
	v_lshlrev_b64 v[0:1], v0, v[4:5]
	v_add_co_u32 v23, s12, s12, v10
	s_delay_alu instid0(VALU_DEP_1)
	v_add_co_ci_u32_e64 v24, null, s13, 0, s12
	s_mov_b64 s[12:13], 0
	s_waitcnt vmcnt(0)
	v_sub_co_u32 v2, vcc_lo, v6, s21
	v_subrev_co_ci_u32_e32 v3, vcc_lo, 0, v7, vcc_lo
	v_sub_co_u32 v4, vcc_lo, v8, s21
	v_cmp_lt_i64_e64 s0, v[6:7], v[8:9]
	v_subrev_co_ci_u32_e32 v5, vcc_lo, 0, v9, vcc_lo
	s_branch .LBB103_9
.LBB103_8:                              ;   in Loop: Header=BB103_9 Depth=1
	s_or_b32 exec_lo, exec_lo, s1
	s_add_u32 s12, s12, 32
	s_addc_u32 s13, s13, 0
	s_delay_alu instid0(SALU_CYCLE_1) | instskip(NEXT) | instid1(VALU_DEP_1)
	v_cmp_lt_i64_e64 s1, s[12:13], s[18:19]
	s_and_b32 vcc_lo, exec_lo, s1
	s_cbranch_vccz .LBB103_30
.LBB103_9:                              ; =>This Loop Header: Depth=1
                                        ;     Child Loop BB103_12 Depth 2
                                        ;       Child Loop BB103_16 Depth 3
	v_or_b32_e64 v7, s13, 0
	v_or_b32_e32 v6, s12, v16
	v_mov_b32_e32 v25, 0
	s_and_saveexec_b32 s21, s0
	s_cbranch_execz .LBB103_18
; %bb.10:                               ;   in Loop: Header=BB103_9 Depth=1
	s_delay_alu instid0(VALU_DEP_2)
	v_add_co_u32 v8, s1, s10, v6
	v_cmp_gt_i64_e32 vcc_lo, s[18:19], v[6:7]
	v_mov_b32_e32 v11, v3
	v_add_co_ci_u32_e64 v9, s1, s11, v7, s1
	v_dual_mov_b32 v25, 0 :: v_dual_mov_b32 v10, v2
	s_mov_b32 s22, 0
	s_branch .LBB103_12
.LBB103_11:                             ;   in Loop: Header=BB103_12 Depth=2
	s_or_b32 exec_lo, exec_lo, s23
	v_add_co_u32 v10, s1, v10, 32
	s_delay_alu instid0(VALU_DEP_1) | instskip(NEXT) | instid1(VALU_DEP_1)
	v_add_co_ci_u32_e64 v11, s1, 0, v11, s1
	v_cmp_ge_i64_e64 s1, v[10:11], v[4:5]
	s_delay_alu instid0(VALU_DEP_1) | instskip(NEXT) | instid1(SALU_CYCLE_1)
	s_or_b32 s22, s1, s22
	s_and_not1_b32 exec_lo, exec_lo, s22
	s_cbranch_execz .LBB103_17
.LBB103_12:                             ;   Parent Loop BB103_9 Depth=1
                                        ; =>  This Loop Header: Depth=2
                                        ;       Child Loop BB103_16 Depth 3
	s_delay_alu instid0(VALU_DEP_1) | instskip(SKIP_4) | instid1(VALU_DEP_2)
	v_add_co_u32 v12, s1, v10, v16
	v_dual_mov_b32 v14, 0 :: v_dual_mov_b32 v27, 0
	v_add_co_ci_u32_e64 v13, s1, 0, v11, s1
	v_dual_mov_b32 v15, 0 :: v_dual_mov_b32 v26, 0
	s_mov_b32 s23, exec_lo
	v_cmpx_lt_i64_e64 v[12:13], v[4:5]
	s_cbranch_execz .LBB103_14
; %bb.13:                               ;   in Loop: Header=BB103_12 Depth=2
	v_lshlrev_b64 v[14:15], 2, v[12:13]
	v_lshlrev_b64 v[12:13], 3, v[12:13]
	s_delay_alu instid0(VALU_DEP_2) | instskip(NEXT) | instid1(VALU_DEP_3)
	v_or_b32_e32 v26, v14, v0
	v_or_b32_e32 v27, v15, v1
	s_delay_alu instid0(VALU_DEP_3) | instskip(NEXT) | instid1(VALU_DEP_1)
	v_add_co_u32 v12, s1, s6, v12
	v_add_co_ci_u32_e64 v13, s1, s7, v13, s1
	s_delay_alu instid0(VALU_DEP_4) | instskip(NEXT) | instid1(VALU_DEP_4)
	v_or_b32_e32 v14, s20, v26
	v_or_b32_e32 v15, 0, v27
	global_load_b64 v[12:13], v[12:13], off
	v_add_co_u32 v14, s1, s8, v14
	s_delay_alu instid0(VALU_DEP_1) | instskip(SKIP_1) | instid1(VALU_DEP_1)
	v_add_co_ci_u32_e64 v15, s1, s9, v15, s1
	v_add_co_u32 v26, s1, s8, v26
	v_add_co_ci_u32_e64 v27, s1, s9, v27, s1
	s_clause 0x1
	global_load_i8 v28, v[14:15], off
	global_load_u8 v26, v[26:27], off
	s_waitcnt vmcnt(2)
	v_sub_co_u32 v12, s1, v12, s3
	s_delay_alu instid0(VALU_DEP_1) | instskip(NEXT) | instid1(VALU_DEP_1)
	v_subrev_co_ci_u32_e64 v13, s1, 0, v13, s1
	v_lshlrev_b64 v[14:15], 1, v[12:13]
	s_waitcnt vmcnt(1)
	v_cvt_f32_i32_e32 v27, v28
.LBB103_14:                             ;   in Loop: Header=BB103_12 Depth=2
	s_or_b32 exec_lo, exec_lo, s23
	s_delay_alu instid0(VALU_DEP_1)
	v_cvt_i32_f32_e32 v12, v27
	ds_store_b64 v19, v[14:15]
	s_waitcnt vmcnt(0)
	ds_store_b8 v20, v26
	ds_store_b8 v20, v12 offset:1
	s_waitcnt lgkmcnt(0)
	s_waitcnt_vscnt null, 0x0
	s_barrier
	buffer_gl0_inv
	s_and_saveexec_b32 s23, vcc_lo
	s_cbranch_execz .LBB103_11
; %bb.15:                               ;   in Loop: Header=BB103_12 Depth=2
	v_mov_b32_e32 v12, v17
	s_mov_b32 s25, 0
.LBB103_16:                             ;   Parent Loop BB103_9 Depth=1
                                        ;     Parent Loop BB103_12 Depth=2
                                        ; =>    This Inner Loop Header: Depth=3
	ds_load_b128 v[26:29], v12
	v_add_nc_u32_e32 v12, 16, v12
	s_waitcnt lgkmcnt(0)
	v_mad_u64_u32 v[13:14], null, v26, s4, v[8:9]
	v_mul_lo_u32 v15, v26, s5
	v_mul_lo_u32 v30, v27, s4
	v_mad_u64_u32 v[26:27], null, v28, s4, v[8:9]
	v_mul_lo_u32 v31, v28, s5
	v_mul_lo_u32 v32, v29, s4
	v_add_co_u32 v28, s1, v13, s4
	v_add3_u32 v14, v30, v14, v15
	s_delay_alu instid0(VALU_DEP_3) | instskip(SKIP_4) | instid1(VALU_DEP_1)
	v_add3_u32 v27, v32, v27, v31
	global_load_i8 v15, v[13:14], off
	v_add_co_ci_u32_e64 v29, s1, s5, v14, s1
	global_load_i8 v28, v[28:29], off
	v_add_co_u32 v13, s1, v26, s4
	v_add_co_ci_u32_e64 v14, s1, s5, v27, s1
	s_clause 0x1
	global_load_i8 v26, v[26:27], off
	global_load_i8 v13, v[13:14], off
	s_waitcnt vmcnt(3)
	v_cvt_f32_i32_e32 v15, v15
	v_add_nc_u32_e32 v14, s25, v18
	ds_load_u16 v27, v14
	ds_load_i8 v29, v14 offset:3
	ds_load_i8 v14, v14 offset:4
	s_add_i32 s25, s25, 6
	s_delay_alu instid0(SALU_CYCLE_1)
	s_cmpk_lg_i32 s25, 0x60
	s_waitcnt vmcnt(1)
	v_cvt_f32_i32_e32 v26, v26
	s_waitcnt vmcnt(0)
	v_cvt_f32_i32_e32 v13, v13
	s_waitcnt lgkmcnt(2)
	v_bfe_i32 v30, v27, 0, 8
	v_ashrrev_i16 v27, 8, v27
	s_waitcnt lgkmcnt(0)
	v_cvt_f32_i32_e32 v14, v14
	s_delay_alu instid0(VALU_DEP_3) | instskip(NEXT) | instid1(VALU_DEP_3)
	v_bfe_i32 v30, v30, 0, 16
	v_bfe_i32 v27, v27, 0, 16
	s_delay_alu instid0(VALU_DEP_2) | instskip(NEXT) | instid1(VALU_DEP_2)
	v_cvt_f32_i32_e32 v30, v30
	v_cvt_f32_i32_e32 v27, v27
	s_delay_alu instid0(VALU_DEP_2) | instskip(SKIP_2) | instid1(VALU_DEP_2)
	v_fmac_f32_e32 v25, v30, v15
	v_cvt_f32_i32_e32 v15, v28
	v_cvt_f32_i32_e32 v28, v29
	v_fmac_f32_e32 v25, v27, v15
	s_delay_alu instid0(VALU_DEP_1) | instskip(NEXT) | instid1(VALU_DEP_1)
	v_fmac_f32_e32 v25, v28, v26
	v_fmac_f32_e32 v25, v14, v13
	s_cbranch_scc1 .LBB103_16
	s_branch .LBB103_11
.LBB103_17:                             ;   in Loop: Header=BB103_9 Depth=1
	s_or_b32 exec_lo, exec_lo, s22
.LBB103_18:                             ;   in Loop: Header=BB103_9 Depth=1
	s_delay_alu instid0(SALU_CYCLE_1) | instskip(NEXT) | instid1(SALU_CYCLE_1)
	s_or_b32 exec_lo, exec_lo, s21
	s_mov_b32 s1, exec_lo
	v_cmpx_gt_i64_e64 s[18:19], v[6:7]
	s_cbranch_execz .LBB103_8
; %bb.19:                               ;   in Loop: Header=BB103_9 Depth=1
	s_and_b32 vcc_lo, exec_lo, s16
	s_cbranch_vccz .LBB103_25
; %bb.20:                               ;   in Loop: Header=BB103_9 Depth=1
	s_and_b32 vcc_lo, exec_lo, s17
	s_mov_b32 s21, -1
	s_cbranch_vccz .LBB103_22
; %bb.21:                               ;   in Loop: Header=BB103_9 Depth=1
	v_lshlrev_b64 v[8:9], 2, v[6:7]
	v_mul_f32_e32 v11, s2, v25
	s_mov_b32 s21, 0
	s_delay_alu instid0(VALU_DEP_2) | instskip(NEXT) | instid1(VALU_DEP_3)
	v_add_co_u32 v8, vcc_lo, v21, v8
	v_add_co_ci_u32_e32 v9, vcc_lo, v22, v9, vcc_lo
	global_load_b32 v10, v[8:9], off
	s_waitcnt vmcnt(0)
	v_fmac_f32_e32 v11, s24, v10
	global_store_b32 v[8:9], v11, off
.LBB103_22:                             ;   in Loop: Header=BB103_9 Depth=1
	s_and_not1_b32 vcc_lo, exec_lo, s21
	s_cbranch_vccnz .LBB103_24
; %bb.23:                               ;   in Loop: Header=BB103_9 Depth=1
	v_mul_lo_u32 v10, v7, s14
	v_mul_lo_u32 v11, v6, s15
	v_mad_u64_u32 v[8:9], null, v6, s14, 0
	s_delay_alu instid0(VALU_DEP_1) | instskip(SKIP_1) | instid1(VALU_DEP_2)
	v_add3_u32 v9, v9, v11, v10
	v_mul_f32_e32 v11, s2, v25
	v_lshlrev_b64 v[8:9], 2, v[8:9]
	s_delay_alu instid0(VALU_DEP_1) | instskip(NEXT) | instid1(VALU_DEP_2)
	v_add_co_u32 v8, vcc_lo, v23, v8
	v_add_co_ci_u32_e32 v9, vcc_lo, v24, v9, vcc_lo
	global_load_b32 v10, v[8:9], off
	s_waitcnt vmcnt(0)
	v_fmac_f32_e32 v11, s24, v10
	global_store_b32 v[8:9], v11, off
.LBB103_24:                             ;   in Loop: Header=BB103_9 Depth=1
	s_cbranch_execnz .LBB103_8
	s_branch .LBB103_26
.LBB103_25:                             ;   in Loop: Header=BB103_9 Depth=1
.LBB103_26:                             ;   in Loop: Header=BB103_9 Depth=1
	v_mul_f32_e32 v8, s2, v25
	s_and_b32 vcc_lo, exec_lo, s17
	s_mov_b32 s21, -1
	s_cbranch_vccz .LBB103_28
; %bb.27:                               ;   in Loop: Header=BB103_9 Depth=1
	v_lshlrev_b64 v[9:10], 2, v[6:7]
	s_mov_b32 s21, 0
	s_delay_alu instid0(VALU_DEP_1) | instskip(NEXT) | instid1(VALU_DEP_2)
	v_add_co_u32 v9, vcc_lo, v21, v9
	v_add_co_ci_u32_e32 v10, vcc_lo, v22, v10, vcc_lo
	global_store_b32 v[9:10], v8, off
.LBB103_28:                             ;   in Loop: Header=BB103_9 Depth=1
	s_and_not1_b32 vcc_lo, exec_lo, s21
	s_cbranch_vccnz .LBB103_8
; %bb.29:                               ;   in Loop: Header=BB103_9 Depth=1
	v_mul_lo_u32 v7, v7, s14
	v_mul_lo_u32 v11, v6, s15
	v_mad_u64_u32 v[9:10], null, v6, s14, 0
	s_delay_alu instid0(VALU_DEP_1) | instskip(NEXT) | instid1(VALU_DEP_1)
	v_add3_u32 v10, v10, v11, v7
	v_lshlrev_b64 v[6:7], 2, v[9:10]
	s_delay_alu instid0(VALU_DEP_1) | instskip(NEXT) | instid1(VALU_DEP_2)
	v_add_co_u32 v6, vcc_lo, v23, v6
	v_add_co_ci_u32_e32 v7, vcc_lo, v24, v7, vcc_lo
	global_store_b32 v[6:7], v8, off
	s_branch .LBB103_8
.LBB103_30:
	s_nop 0
	s_sendmsg sendmsg(MSG_DEALLOC_VGPRS)
	s_endpgm
	.section	.rodata,"a",@progbits
	.p2align	6, 0x0
	.amdhsa_kernel _ZN9rocsparseL29bsrmmnt_small_blockdim_kernelILj64ELj32ELj2EllaaffEEv20rocsparse_direction_T3_S2_llNS_24const_host_device_scalarIT7_EEPKT2_PKS2_PKT4_PKT5_llS5_PT6_ll16rocsparse_order_21rocsparse_index_base_b
		.amdhsa_group_segment_fixed_size 704
		.amdhsa_private_segment_fixed_size 0
		.amdhsa_kernarg_size 400
		.amdhsa_user_sgpr_count 15
		.amdhsa_user_sgpr_dispatch_ptr 0
		.amdhsa_user_sgpr_queue_ptr 0
		.amdhsa_user_sgpr_kernarg_segment_ptr 1
		.amdhsa_user_sgpr_dispatch_id 0
		.amdhsa_user_sgpr_private_segment_size 0
		.amdhsa_wavefront_size32 1
		.amdhsa_uses_dynamic_stack 0
		.amdhsa_enable_private_segment 0
		.amdhsa_system_sgpr_workgroup_id_x 1
		.amdhsa_system_sgpr_workgroup_id_y 0
		.amdhsa_system_sgpr_workgroup_id_z 0
		.amdhsa_system_sgpr_workgroup_info 0
		.amdhsa_system_vgpr_workitem_id 0
		.amdhsa_next_free_vgpr 33
		.amdhsa_next_free_sgpr 26
		.amdhsa_reserve_vcc 1
		.amdhsa_float_round_mode_32 0
		.amdhsa_float_round_mode_16_64 0
		.amdhsa_float_denorm_mode_32 3
		.amdhsa_float_denorm_mode_16_64 3
		.amdhsa_dx10_clamp 1
		.amdhsa_ieee_mode 1
		.amdhsa_fp16_overflow 0
		.amdhsa_workgroup_processor_mode 1
		.amdhsa_memory_ordered 1
		.amdhsa_forward_progress 0
		.amdhsa_shared_vgpr_count 0
		.amdhsa_exception_fp_ieee_invalid_op 0
		.amdhsa_exception_fp_denorm_src 0
		.amdhsa_exception_fp_ieee_div_zero 0
		.amdhsa_exception_fp_ieee_overflow 0
		.amdhsa_exception_fp_ieee_underflow 0
		.amdhsa_exception_fp_ieee_inexact 0
		.amdhsa_exception_int_div_zero 0
	.end_amdhsa_kernel
	.section	.text._ZN9rocsparseL29bsrmmnt_small_blockdim_kernelILj64ELj32ELj2EllaaffEEv20rocsparse_direction_T3_S2_llNS_24const_host_device_scalarIT7_EEPKT2_PKS2_PKT4_PKT5_llS5_PT6_ll16rocsparse_order_21rocsparse_index_base_b,"axG",@progbits,_ZN9rocsparseL29bsrmmnt_small_blockdim_kernelILj64ELj32ELj2EllaaffEEv20rocsparse_direction_T3_S2_llNS_24const_host_device_scalarIT7_EEPKT2_PKS2_PKT4_PKT5_llS5_PT6_ll16rocsparse_order_21rocsparse_index_base_b,comdat
.Lfunc_end103:
	.size	_ZN9rocsparseL29bsrmmnt_small_blockdim_kernelILj64ELj32ELj2EllaaffEEv20rocsparse_direction_T3_S2_llNS_24const_host_device_scalarIT7_EEPKT2_PKS2_PKT4_PKT5_llS5_PT6_ll16rocsparse_order_21rocsparse_index_base_b, .Lfunc_end103-_ZN9rocsparseL29bsrmmnt_small_blockdim_kernelILj64ELj32ELj2EllaaffEEv20rocsparse_direction_T3_S2_llNS_24const_host_device_scalarIT7_EEPKT2_PKS2_PKT4_PKT5_llS5_PT6_ll16rocsparse_order_21rocsparse_index_base_b
                                        ; -- End function
	.section	.AMDGPU.csdata,"",@progbits
; Kernel info:
; codeLenInByte = 1600
; NumSgprs: 28
; NumVgprs: 33
; ScratchSize: 0
; MemoryBound: 0
; FloatMode: 240
; IeeeMode: 1
; LDSByteSize: 704 bytes/workgroup (compile time only)
; SGPRBlocks: 3
; VGPRBlocks: 4
; NumSGPRsForWavesPerEU: 28
; NumVGPRsForWavesPerEU: 33
; Occupancy: 16
; WaveLimiterHint : 1
; COMPUTE_PGM_RSRC2:SCRATCH_EN: 0
; COMPUTE_PGM_RSRC2:USER_SGPR: 15
; COMPUTE_PGM_RSRC2:TRAP_HANDLER: 0
; COMPUTE_PGM_RSRC2:TGID_X_EN: 1
; COMPUTE_PGM_RSRC2:TGID_Y_EN: 0
; COMPUTE_PGM_RSRC2:TGID_Z_EN: 0
; COMPUTE_PGM_RSRC2:TIDIG_COMP_CNT: 0
	.section	.text._ZN9rocsparseL29bsrmmnt_small_blockdim_kernelILj64ELj64ELj2EllaaffEEv20rocsparse_direction_T3_S2_llNS_24const_host_device_scalarIT7_EEPKT2_PKS2_PKT4_PKT5_llS5_PT6_ll16rocsparse_order_21rocsparse_index_base_b,"axG",@progbits,_ZN9rocsparseL29bsrmmnt_small_blockdim_kernelILj64ELj64ELj2EllaaffEEv20rocsparse_direction_T3_S2_llNS_24const_host_device_scalarIT7_EEPKT2_PKS2_PKT4_PKT5_llS5_PT6_ll16rocsparse_order_21rocsparse_index_base_b,comdat
	.globl	_ZN9rocsparseL29bsrmmnt_small_blockdim_kernelILj64ELj64ELj2EllaaffEEv20rocsparse_direction_T3_S2_llNS_24const_host_device_scalarIT7_EEPKT2_PKS2_PKT4_PKT5_llS5_PT6_ll16rocsparse_order_21rocsparse_index_base_b ; -- Begin function _ZN9rocsparseL29bsrmmnt_small_blockdim_kernelILj64ELj64ELj2EllaaffEEv20rocsparse_direction_T3_S2_llNS_24const_host_device_scalarIT7_EEPKT2_PKS2_PKT4_PKT5_llS5_PT6_ll16rocsparse_order_21rocsparse_index_base_b
	.p2align	8
	.type	_ZN9rocsparseL29bsrmmnt_small_blockdim_kernelILj64ELj64ELj2EllaaffEEv20rocsparse_direction_T3_S2_llNS_24const_host_device_scalarIT7_EEPKT2_PKS2_PKT4_PKT5_llS5_PT6_ll16rocsparse_order_21rocsparse_index_base_b,@function
_ZN9rocsparseL29bsrmmnt_small_blockdim_kernelILj64ELj64ELj2EllaaffEEv20rocsparse_direction_T3_S2_llNS_24const_host_device_scalarIT7_EEPKT2_PKS2_PKT4_PKT5_llS5_PT6_ll16rocsparse_order_21rocsparse_index_base_b: ; @_ZN9rocsparseL29bsrmmnt_small_blockdim_kernelILj64ELj64ELj2EllaaffEEv20rocsparse_direction_T3_S2_llNS_24const_host_device_scalarIT7_EEPKT2_PKS2_PKT4_PKT5_llS5_PT6_ll16rocsparse_order_21rocsparse_index_base_b
; %bb.0:
	s_clause 0x2
	s_load_b128 s[20:23], s[0:1], 0x80
	s_load_b64 s[2:3], s[0:1], 0x28
	s_load_b64 s[24:25], s[0:1], 0x60
	s_waitcnt lgkmcnt(0)
	s_bitcmp1_b32 s22, 0
	s_cselect_b32 s4, -1, 0
	s_delay_alu instid0(SALU_CYCLE_1)
	s_and_b32 vcc_lo, exec_lo, s4
	s_xor_b32 s4, s4, -1
	s_cbranch_vccnz .LBB104_2
; %bb.1:
	s_load_b32 s2, s[2:3], 0x0
.LBB104_2:
	s_and_not1_b32 vcc_lo, exec_lo, s4
	s_cbranch_vccnz .LBB104_4
; %bb.3:
	s_load_b32 s24, s[24:25], 0x0
.LBB104_4:
	s_waitcnt lgkmcnt(0)
	v_cmp_eq_f32_e64 s3, s2, 0
	v_cmp_eq_f32_e64 s4, s24, 1.0
	s_delay_alu instid0(VALU_DEP_1) | instskip(NEXT) | instid1(SALU_CYCLE_1)
	s_and_b32 s3, s3, s4
	s_and_b32 vcc_lo, exec_lo, s3
	s_cbranch_vccnz .LBB104_30
; %bb.5:
	s_clause 0x1
	s_load_b32 s3, s[0:1], 0x9c
	s_load_b128 s[16:19], s[0:1], 0x8
	v_mov_b32_e32 v3, 0
	s_waitcnt lgkmcnt(0)
	s_and_b32 s3, s3, 0xffff
	s_delay_alu instid0(SALU_CYCLE_1) | instskip(SKIP_1) | instid1(VALU_DEP_1)
	v_mad_u64_u32 v[1:2], null, s15, s3, v[0:1]
	s_mov_b32 s3, exec_lo
	v_lshrrev_b32_e32 v2, 7, v1
	s_delay_alu instid0(VALU_DEP_1)
	v_cmpx_gt_i64_e64 s[16:17], v[2:3]
	s_cbranch_execz .LBB104_30
; %bb.6:
	v_cmp_lt_i64_e64 s3, s[18:19], 1
	s_delay_alu instid0(VALU_DEP_1)
	s_and_b32 vcc_lo, exec_lo, s3
	s_cbranch_vccnz .LBB104_30
; %bb.7:
	s_load_b256 s[4:11], s[0:1], 0x30
	v_lshlrev_b32_e32 v2, 3, v2
	s_load_b128 s[12:15], s[0:1], 0x68
	v_lshrrev_b32_e32 v11, 6, v1
	s_cmp_lg_u32 s20, 1
	v_dual_mov_b32 v6, 0 :: v_dual_lshlrev_b32 v17, 3, v0
	s_cselect_b32 s16, -1, 0
	v_cmp_neq_f32_e64 s17, s24, 0
	s_mov_b32 s3, s21
	s_waitcnt lgkmcnt(0)
	global_load_b128 v[7:10], v2, s[4:5]
	s_load_b64 s[4:5], s[0:1], 0x50
	v_mad_u64_u32 v[2:3], null, v11, s14, 0
	s_load_b32 s0, s[0:1], 0x0
	s_delay_alu instid0(VALU_DEP_1) | instskip(SKIP_3) | instid1(VALU_DEP_2)
	v_mad_u64_u32 v[4:5], null, v11, s15, v[3:4]
	v_bfe_u32 v5, v1, 6, 1
	v_mul_u32_u24_e32 v1, 3, v0
	v_lshlrev_b32_e32 v11, 2, v11
	v_or_b32_e32 v18, 0x200, v1
	v_mov_b32_e32 v3, v4
	s_waitcnt lgkmcnt(0)
	s_cmp_eq_u32 s0, 0
	s_delay_alu instid0(VALU_DEP_1) | instskip(SKIP_1) | instid1(SALU_CYCLE_1)
	v_lshlrev_b64 v[3:4], 2, v[2:3]
	s_cselect_b32 s1, -1, 0
	v_cndmask_b32_e64 v12, 0, 1, s1
	s_and_b32 s1, s1, exec_lo
	s_cselect_b32 s20, 1, 2
	s_delay_alu instid0(VALU_DEP_2) | instskip(SKIP_3) | instid1(VALU_DEP_1)
	v_add_co_u32 v19, vcc_lo, s12, v3
	v_add_co_ci_u32_e32 v20, vcc_lo, s13, v4, vcc_lo
	v_lshlrev_b64 v[1:2], v12, v[5:6]
	v_add_co_u32 v21, s12, s12, v11
	v_add_co_ci_u32_e64 v22, null, s13, 0, s12
	s_mov_b64 s[12:13], 0
	s_waitcnt vmcnt(0)
	v_sub_co_u32 v3, vcc_lo, v7, s21
	v_subrev_co_ci_u32_e32 v4, vcc_lo, 0, v8, vcc_lo
	v_sub_co_u32 v5, vcc_lo, v9, s21
	v_cmp_lt_i64_e64 s0, v[7:8], v[9:10]
	v_subrev_co_ci_u32_e32 v6, vcc_lo, 0, v10, vcc_lo
	s_branch .LBB104_9
.LBB104_8:                              ;   in Loop: Header=BB104_9 Depth=1
	s_or_b32 exec_lo, exec_lo, s1
	s_add_u32 s12, s12, 64
	s_addc_u32 s13, s13, 0
	s_delay_alu instid0(SALU_CYCLE_1) | instskip(NEXT) | instid1(VALU_DEP_1)
	v_cmp_lt_i64_e64 s1, s[12:13], s[18:19]
	s_and_b32 vcc_lo, exec_lo, s1
	s_cbranch_vccz .LBB104_30
.LBB104_9:                              ; =>This Loop Header: Depth=1
                                        ;     Child Loop BB104_12 Depth 2
                                        ;       Child Loop BB104_16 Depth 3
	v_or_b32_e64 v8, s13, 0
	v_or_b32_e32 v7, s12, v0
	v_mov_b32_e32 v23, 0
	s_and_saveexec_b32 s21, s0
	s_cbranch_execz .LBB104_18
; %bb.10:                               ;   in Loop: Header=BB104_9 Depth=1
	s_delay_alu instid0(VALU_DEP_2)
	v_add_co_u32 v9, s1, s10, v7
	v_cmp_gt_i64_e32 vcc_lo, s[18:19], v[7:8]
	v_dual_mov_b32 v23, 0 :: v_dual_mov_b32 v12, v4
	v_add_co_ci_u32_e64 v10, s1, s11, v8, s1
	v_mov_b32_e32 v11, v3
	s_mov_b32 s22, 0
	s_branch .LBB104_12
.LBB104_11:                             ;   in Loop: Header=BB104_12 Depth=2
	s_or_b32 exec_lo, exec_lo, s23
	v_add_co_u32 v11, s1, v11, 64
	s_delay_alu instid0(VALU_DEP_1) | instskip(NEXT) | instid1(VALU_DEP_1)
	v_add_co_ci_u32_e64 v12, s1, 0, v12, s1
	v_cmp_ge_i64_e64 s1, v[11:12], v[5:6]
	s_delay_alu instid0(VALU_DEP_1) | instskip(NEXT) | instid1(SALU_CYCLE_1)
	s_or_b32 s22, s1, s22
	s_and_not1_b32 exec_lo, exec_lo, s22
	s_cbranch_execz .LBB104_17
.LBB104_12:                             ;   Parent Loop BB104_9 Depth=1
                                        ; =>  This Loop Header: Depth=2
                                        ;       Child Loop BB104_16 Depth 3
	s_delay_alu instid0(VALU_DEP_1) | instskip(SKIP_4) | instid1(VALU_DEP_2)
	v_add_co_u32 v13, s1, v11, v0
	v_dual_mov_b32 v15, 0 :: v_dual_mov_b32 v24, 0
	v_add_co_ci_u32_e64 v14, s1, 0, v12, s1
	v_dual_mov_b32 v16, 0 :: v_dual_mov_b32 v25, 0
	s_mov_b32 s23, exec_lo
	v_cmpx_lt_i64_e64 v[13:14], v[5:6]
	s_cbranch_execz .LBB104_14
; %bb.13:                               ;   in Loop: Header=BB104_12 Depth=2
	v_lshlrev_b64 v[15:16], 2, v[13:14]
	v_lshlrev_b64 v[13:14], 3, v[13:14]
	s_delay_alu instid0(VALU_DEP_2) | instskip(NEXT) | instid1(VALU_DEP_3)
	v_or_b32_e32 v24, v15, v1
	v_or_b32_e32 v25, v16, v2
	s_delay_alu instid0(VALU_DEP_3) | instskip(NEXT) | instid1(VALU_DEP_1)
	v_add_co_u32 v13, s1, s6, v13
	v_add_co_ci_u32_e64 v14, s1, s7, v14, s1
	s_delay_alu instid0(VALU_DEP_4) | instskip(NEXT) | instid1(VALU_DEP_4)
	v_or_b32_e32 v15, s20, v24
	v_or_b32_e32 v16, 0, v25
	global_load_b64 v[13:14], v[13:14], off
	v_add_co_u32 v15, s1, s8, v15
	s_delay_alu instid0(VALU_DEP_1) | instskip(SKIP_1) | instid1(VALU_DEP_1)
	v_add_co_ci_u32_e64 v16, s1, s9, v16, s1
	v_add_co_u32 v24, s1, s8, v24
	v_add_co_ci_u32_e64 v25, s1, s9, v25, s1
	s_clause 0x1
	global_load_i8 v26, v[15:16], off
	global_load_u8 v24, v[24:25], off
	s_waitcnt vmcnt(2)
	v_sub_co_u32 v13, s1, v13, s3
	s_delay_alu instid0(VALU_DEP_1) | instskip(NEXT) | instid1(VALU_DEP_1)
	v_subrev_co_ci_u32_e64 v14, s1, 0, v14, s1
	v_lshlrev_b64 v[15:16], 1, v[13:14]
	s_waitcnt vmcnt(1)
	v_cvt_f32_i32_e32 v25, v26
.LBB104_14:                             ;   in Loop: Header=BB104_12 Depth=2
	s_or_b32 exec_lo, exec_lo, s23
	s_delay_alu instid0(VALU_DEP_1)
	v_cvt_i32_f32_e32 v13, v25
	ds_store_b64 v17, v[15:16]
	s_waitcnt vmcnt(0)
	ds_store_b8 v18, v24
	ds_store_b8 v18, v13 offset:1
	s_waitcnt lgkmcnt(0)
	s_waitcnt_vscnt null, 0x0
	s_barrier
	buffer_gl0_inv
	s_and_saveexec_b32 s23, vcc_lo
	s_cbranch_execz .LBB104_11
; %bb.15:                               ;   in Loop: Header=BB104_12 Depth=2
	v_mov_b32_e32 v13, 0
	s_mov_b32 s25, 0
.LBB104_16:                             ;   Parent Loop BB104_9 Depth=1
                                        ;     Parent Loop BB104_12 Depth=2
                                        ; =>    This Inner Loop Header: Depth=3
	ds_load_b128 v[24:27], v13
	v_add_nc_u32_e32 v13, 16, v13
	s_waitcnt lgkmcnt(0)
	v_mad_u64_u32 v[14:15], null, v24, s4, v[9:10]
	v_mul_lo_u32 v16, v24, s5
	v_mul_lo_u32 v28, v25, s4
	v_mad_u64_u32 v[24:25], null, v26, s4, v[9:10]
	v_mul_lo_u32 v29, v26, s5
	v_mul_lo_u32 v30, v27, s4
	v_add_co_u32 v26, s1, v14, s4
	v_add3_u32 v15, v28, v15, v16
	s_delay_alu instid0(VALU_DEP_3) | instskip(SKIP_4) | instid1(VALU_DEP_1)
	v_add3_u32 v25, v30, v25, v29
	global_load_i8 v16, v[14:15], off
	v_add_co_ci_u32_e64 v27, s1, s5, v15, s1
	global_load_i8 v26, v[26:27], off
	v_add_co_u32 v14, s1, v24, s4
	v_add_co_ci_u32_e64 v15, s1, s5, v25, s1
	s_clause 0x1
	global_load_i8 v24, v[24:25], off
	global_load_i8 v14, v[14:15], off
	v_add_nc_u32_e64 v15, 0x200, s25
	ds_load_u16 v25, v15
	ds_load_i8 v27, v15 offset:3
	ds_load_i8 v15, v15 offset:4
	s_add_i32 s25, s25, 6
	s_delay_alu instid0(SALU_CYCLE_1)
	s_cmpk_lg_i32 s25, 0xc0
	s_waitcnt lgkmcnt(2)
	v_bfe_i32 v28, v25, 0, 8
	v_ashrrev_i16 v25, 8, v25
	s_waitcnt lgkmcnt(0)
	v_cvt_f32_i32_e32 v15, v15
	s_delay_alu instid0(VALU_DEP_3) | instskip(NEXT) | instid1(VALU_DEP_3)
	v_bfe_i32 v28, v28, 0, 16
	v_bfe_i32 v25, v25, 0, 16
	s_delay_alu instid0(VALU_DEP_2) | instskip(NEXT) | instid1(VALU_DEP_2)
	v_cvt_f32_i32_e32 v28, v28
	v_cvt_f32_i32_e32 v25, v25
	s_waitcnt vmcnt(3)
	v_cvt_f32_i32_e32 v16, v16
	s_delay_alu instid0(VALU_DEP_1) | instskip(SKIP_3) | instid1(VALU_DEP_2)
	v_fmac_f32_e32 v23, v28, v16
	s_waitcnt vmcnt(2)
	v_cvt_f32_i32_e32 v16, v26
	v_cvt_f32_i32_e32 v26, v27
	v_fmac_f32_e32 v23, v25, v16
	s_waitcnt vmcnt(1)
	v_cvt_f32_i32_e32 v24, v24
	s_waitcnt vmcnt(0)
	v_cvt_f32_i32_e32 v14, v14
	s_delay_alu instid0(VALU_DEP_2) | instskip(NEXT) | instid1(VALU_DEP_1)
	v_fmac_f32_e32 v23, v26, v24
	v_fmac_f32_e32 v23, v15, v14
	s_cbranch_scc1 .LBB104_16
	s_branch .LBB104_11
.LBB104_17:                             ;   in Loop: Header=BB104_9 Depth=1
	s_or_b32 exec_lo, exec_lo, s22
.LBB104_18:                             ;   in Loop: Header=BB104_9 Depth=1
	s_delay_alu instid0(SALU_CYCLE_1) | instskip(NEXT) | instid1(SALU_CYCLE_1)
	s_or_b32 exec_lo, exec_lo, s21
	s_mov_b32 s1, exec_lo
	v_cmpx_gt_i64_e64 s[18:19], v[7:8]
	s_cbranch_execz .LBB104_8
; %bb.19:                               ;   in Loop: Header=BB104_9 Depth=1
	s_and_b32 vcc_lo, exec_lo, s17
	s_cbranch_vccz .LBB104_25
; %bb.20:                               ;   in Loop: Header=BB104_9 Depth=1
	s_and_b32 vcc_lo, exec_lo, s16
	s_mov_b32 s21, -1
	s_cbranch_vccz .LBB104_22
; %bb.21:                               ;   in Loop: Header=BB104_9 Depth=1
	v_lshlrev_b64 v[9:10], 2, v[7:8]
	v_mul_f32_e32 v12, s2, v23
	s_mov_b32 s21, 0
	s_delay_alu instid0(VALU_DEP_2) | instskip(NEXT) | instid1(VALU_DEP_3)
	v_add_co_u32 v9, vcc_lo, v19, v9
	v_add_co_ci_u32_e32 v10, vcc_lo, v20, v10, vcc_lo
	global_load_b32 v11, v[9:10], off
	s_waitcnt vmcnt(0)
	v_fmac_f32_e32 v12, s24, v11
	global_store_b32 v[9:10], v12, off
.LBB104_22:                             ;   in Loop: Header=BB104_9 Depth=1
	s_and_not1_b32 vcc_lo, exec_lo, s21
	s_cbranch_vccnz .LBB104_24
; %bb.23:                               ;   in Loop: Header=BB104_9 Depth=1
	v_mul_lo_u32 v11, v8, s14
	v_mul_lo_u32 v12, v7, s15
	v_mad_u64_u32 v[9:10], null, v7, s14, 0
	s_delay_alu instid0(VALU_DEP_1) | instskip(SKIP_1) | instid1(VALU_DEP_2)
	v_add3_u32 v10, v10, v12, v11
	v_mul_f32_e32 v12, s2, v23
	v_lshlrev_b64 v[9:10], 2, v[9:10]
	s_delay_alu instid0(VALU_DEP_1) | instskip(NEXT) | instid1(VALU_DEP_2)
	v_add_co_u32 v9, vcc_lo, v21, v9
	v_add_co_ci_u32_e32 v10, vcc_lo, v22, v10, vcc_lo
	global_load_b32 v11, v[9:10], off
	s_waitcnt vmcnt(0)
	v_fmac_f32_e32 v12, s24, v11
	global_store_b32 v[9:10], v12, off
.LBB104_24:                             ;   in Loop: Header=BB104_9 Depth=1
	s_cbranch_execnz .LBB104_8
	s_branch .LBB104_26
.LBB104_25:                             ;   in Loop: Header=BB104_9 Depth=1
.LBB104_26:                             ;   in Loop: Header=BB104_9 Depth=1
	v_mul_f32_e32 v9, s2, v23
	s_and_b32 vcc_lo, exec_lo, s16
	s_mov_b32 s21, -1
	s_cbranch_vccz .LBB104_28
; %bb.27:                               ;   in Loop: Header=BB104_9 Depth=1
	v_lshlrev_b64 v[10:11], 2, v[7:8]
	s_mov_b32 s21, 0
	s_delay_alu instid0(VALU_DEP_1) | instskip(NEXT) | instid1(VALU_DEP_2)
	v_add_co_u32 v10, vcc_lo, v19, v10
	v_add_co_ci_u32_e32 v11, vcc_lo, v20, v11, vcc_lo
	global_store_b32 v[10:11], v9, off
.LBB104_28:                             ;   in Loop: Header=BB104_9 Depth=1
	s_and_not1_b32 vcc_lo, exec_lo, s21
	s_cbranch_vccnz .LBB104_8
; %bb.29:                               ;   in Loop: Header=BB104_9 Depth=1
	v_mul_lo_u32 v8, v8, s14
	v_mul_lo_u32 v12, v7, s15
	v_mad_u64_u32 v[10:11], null, v7, s14, 0
	s_delay_alu instid0(VALU_DEP_1) | instskip(NEXT) | instid1(VALU_DEP_1)
	v_add3_u32 v11, v11, v12, v8
	v_lshlrev_b64 v[7:8], 2, v[10:11]
	s_delay_alu instid0(VALU_DEP_1) | instskip(NEXT) | instid1(VALU_DEP_2)
	v_add_co_u32 v7, vcc_lo, v21, v7
	v_add_co_ci_u32_e32 v8, vcc_lo, v22, v8, vcc_lo
	global_store_b32 v[7:8], v9, off
	s_branch .LBB104_8
.LBB104_30:
	s_nop 0
	s_sendmsg sendmsg(MSG_DEALLOC_VGPRS)
	s_endpgm
	.section	.rodata,"a",@progbits
	.p2align	6, 0x0
	.amdhsa_kernel _ZN9rocsparseL29bsrmmnt_small_blockdim_kernelILj64ELj64ELj2EllaaffEEv20rocsparse_direction_T3_S2_llNS_24const_host_device_scalarIT7_EEPKT2_PKS2_PKT4_PKT5_llS5_PT6_ll16rocsparse_order_21rocsparse_index_base_b
		.amdhsa_group_segment_fixed_size 704
		.amdhsa_private_segment_fixed_size 0
		.amdhsa_kernarg_size 400
		.amdhsa_user_sgpr_count 15
		.amdhsa_user_sgpr_dispatch_ptr 0
		.amdhsa_user_sgpr_queue_ptr 0
		.amdhsa_user_sgpr_kernarg_segment_ptr 1
		.amdhsa_user_sgpr_dispatch_id 0
		.amdhsa_user_sgpr_private_segment_size 0
		.amdhsa_wavefront_size32 1
		.amdhsa_uses_dynamic_stack 0
		.amdhsa_enable_private_segment 0
		.amdhsa_system_sgpr_workgroup_id_x 1
		.amdhsa_system_sgpr_workgroup_id_y 0
		.amdhsa_system_sgpr_workgroup_id_z 0
		.amdhsa_system_sgpr_workgroup_info 0
		.amdhsa_system_vgpr_workitem_id 0
		.amdhsa_next_free_vgpr 31
		.amdhsa_next_free_sgpr 26
		.amdhsa_reserve_vcc 1
		.amdhsa_float_round_mode_32 0
		.amdhsa_float_round_mode_16_64 0
		.amdhsa_float_denorm_mode_32 3
		.amdhsa_float_denorm_mode_16_64 3
		.amdhsa_dx10_clamp 1
		.amdhsa_ieee_mode 1
		.amdhsa_fp16_overflow 0
		.amdhsa_workgroup_processor_mode 1
		.amdhsa_memory_ordered 1
		.amdhsa_forward_progress 0
		.amdhsa_shared_vgpr_count 0
		.amdhsa_exception_fp_ieee_invalid_op 0
		.amdhsa_exception_fp_denorm_src 0
		.amdhsa_exception_fp_ieee_div_zero 0
		.amdhsa_exception_fp_ieee_overflow 0
		.amdhsa_exception_fp_ieee_underflow 0
		.amdhsa_exception_fp_ieee_inexact 0
		.amdhsa_exception_int_div_zero 0
	.end_amdhsa_kernel
	.section	.text._ZN9rocsparseL29bsrmmnt_small_blockdim_kernelILj64ELj64ELj2EllaaffEEv20rocsparse_direction_T3_S2_llNS_24const_host_device_scalarIT7_EEPKT2_PKS2_PKT4_PKT5_llS5_PT6_ll16rocsparse_order_21rocsparse_index_base_b,"axG",@progbits,_ZN9rocsparseL29bsrmmnt_small_blockdim_kernelILj64ELj64ELj2EllaaffEEv20rocsparse_direction_T3_S2_llNS_24const_host_device_scalarIT7_EEPKT2_PKS2_PKT4_PKT5_llS5_PT6_ll16rocsparse_order_21rocsparse_index_base_b,comdat
.Lfunc_end104:
	.size	_ZN9rocsparseL29bsrmmnt_small_blockdim_kernelILj64ELj64ELj2EllaaffEEv20rocsparse_direction_T3_S2_llNS_24const_host_device_scalarIT7_EEPKT2_PKS2_PKT4_PKT5_llS5_PT6_ll16rocsparse_order_21rocsparse_index_base_b, .Lfunc_end104-_ZN9rocsparseL29bsrmmnt_small_blockdim_kernelILj64ELj64ELj2EllaaffEEv20rocsparse_direction_T3_S2_llNS_24const_host_device_scalarIT7_EEPKT2_PKS2_PKT4_PKT5_llS5_PT6_ll16rocsparse_order_21rocsparse_index_base_b
                                        ; -- End function
	.section	.AMDGPU.csdata,"",@progbits
; Kernel info:
; codeLenInByte = 1580
; NumSgprs: 28
; NumVgprs: 31
; ScratchSize: 0
; MemoryBound: 0
; FloatMode: 240
; IeeeMode: 1
; LDSByteSize: 704 bytes/workgroup (compile time only)
; SGPRBlocks: 3
; VGPRBlocks: 3
; NumSGPRsForWavesPerEU: 28
; NumVGPRsForWavesPerEU: 31
; Occupancy: 16
; WaveLimiterHint : 1
; COMPUTE_PGM_RSRC2:SCRATCH_EN: 0
; COMPUTE_PGM_RSRC2:USER_SGPR: 15
; COMPUTE_PGM_RSRC2:TRAP_HANDLER: 0
; COMPUTE_PGM_RSRC2:TGID_X_EN: 1
; COMPUTE_PGM_RSRC2:TGID_Y_EN: 0
; COMPUTE_PGM_RSRC2:TGID_Z_EN: 0
; COMPUTE_PGM_RSRC2:TIDIG_COMP_CNT: 0
	.text
	.p2alignl 7, 3214868480
	.fill 96, 4, 3214868480
	.type	__hip_cuid_63883ce2a339294e,@object ; @__hip_cuid_63883ce2a339294e
	.section	.bss,"aw",@nobits
	.globl	__hip_cuid_63883ce2a339294e
__hip_cuid_63883ce2a339294e:
	.byte	0                               ; 0x0
	.size	__hip_cuid_63883ce2a339294e, 1

	.ident	"AMD clang version 19.0.0git (https://github.com/RadeonOpenCompute/llvm-project roc-6.4.0 25133 c7fe45cf4b819c5991fe208aaa96edf142730f1d)"
	.section	".note.GNU-stack","",@progbits
	.addrsig
	.addrsig_sym __hip_cuid_63883ce2a339294e
	.amdgpu_metadata
---
amdhsa.kernels:
  - .args:
      - .offset:         0
        .size:           4
        .value_kind:     by_value
      - .offset:         4
        .size:           4
        .value_kind:     by_value
      - .offset:         8
        .size:           4
        .value_kind:     by_value
      - .offset:         16
        .size:           8
        .value_kind:     by_value
      - .offset:         24
        .size:           8
        .value_kind:     by_value
      - .offset:         32
        .size:           8
        .value_kind:     by_value
      - .actual_access:  read_only
        .address_space:  global
        .offset:         40
        .size:           8
        .value_kind:     global_buffer
      - .actual_access:  read_only
        .address_space:  global
        .offset:         48
        .size:           8
        .value_kind:     global_buffer
      - .actual_access:  read_only
        .address_space:  global
        .offset:         56
        .size:           8
        .value_kind:     global_buffer
      - .actual_access:  read_only
        .address_space:  global
        .offset:         64
        .size:           8
        .value_kind:     global_buffer
      - .offset:         72
        .size:           8
        .value_kind:     by_value
      - .offset:         80
        .size:           8
        .value_kind:     by_value
      - .offset:         88
        .size:           8
        .value_kind:     by_value
      - .address_space:  global
        .offset:         96
        .size:           8
        .value_kind:     global_buffer
      - .offset:         104
        .size:           8
        .value_kind:     by_value
      - .offset:         112
        .size:           8
        .value_kind:     by_value
      - .offset:         120
        .size:           4
        .value_kind:     by_value
      - .offset:         124
        .size:           4
        .value_kind:     by_value
      - .offset:         128
        .size:           1
        .value_kind:     by_value
      - .offset:         136
        .size:           4
        .value_kind:     hidden_block_count_x
      - .offset:         140
        .size:           4
        .value_kind:     hidden_block_count_y
      - .offset:         144
        .size:           4
        .value_kind:     hidden_block_count_z
      - .offset:         148
        .size:           2
        .value_kind:     hidden_group_size_x
      - .offset:         150
        .size:           2
        .value_kind:     hidden_group_size_y
      - .offset:         152
        .size:           2
        .value_kind:     hidden_group_size_z
      - .offset:         154
        .size:           2
        .value_kind:     hidden_remainder_x
      - .offset:         156
        .size:           2
        .value_kind:     hidden_remainder_y
      - .offset:         158
        .size:           2
        .value_kind:     hidden_remainder_z
      - .offset:         176
        .size:           8
        .value_kind:     hidden_global_offset_x
      - .offset:         184
        .size:           8
        .value_kind:     hidden_global_offset_y
      - .offset:         192
        .size:           8
        .value_kind:     hidden_global_offset_z
      - .offset:         200
        .size:           2
        .value_kind:     hidden_grid_dims
    .group_segment_fixed_size: 1024
    .kernarg_segment_align: 8
    .kernarg_segment_size: 392
    .language:       OpenCL C
    .language_version:
      - 2
      - 0
    .max_flat_workgroup_size: 64
    .name:           _ZN9rocsparseL29bsrmmnn_small_blockdim_kernelILj64ELj8ELj2EiiffffEEv20rocsparse_direction_T3_S2_llNS_24const_host_device_scalarIT7_EEPKT2_PKS2_PKT4_PKT5_llS5_PT6_ll16rocsparse_order_21rocsparse_index_base_b
    .private_segment_fixed_size: 0
    .sgpr_count:     30
    .sgpr_spill_count: 0
    .symbol:         _ZN9rocsparseL29bsrmmnn_small_blockdim_kernelILj64ELj8ELj2EiiffffEEv20rocsparse_direction_T3_S2_llNS_24const_host_device_scalarIT7_EEPKT2_PKS2_PKT4_PKT5_llS5_PT6_ll16rocsparse_order_21rocsparse_index_base_b.kd
    .uniform_work_group_size: 1
    .uses_dynamic_stack: false
    .vgpr_count:     46
    .vgpr_spill_count: 0
    .wavefront_size: 32
    .workgroup_processor_mode: 1
  - .args:
      - .offset:         0
        .size:           4
        .value_kind:     by_value
      - .offset:         4
        .size:           4
        .value_kind:     by_value
      - .offset:         8
        .size:           4
        .value_kind:     by_value
      - .offset:         16
        .size:           8
        .value_kind:     by_value
      - .offset:         24
        .size:           8
        .value_kind:     by_value
      - .offset:         32
        .size:           8
        .value_kind:     by_value
      - .actual_access:  read_only
        .address_space:  global
        .offset:         40
        .size:           8
        .value_kind:     global_buffer
      - .actual_access:  read_only
        .address_space:  global
        .offset:         48
        .size:           8
        .value_kind:     global_buffer
      - .actual_access:  read_only
        .address_space:  global
        .offset:         56
        .size:           8
        .value_kind:     global_buffer
      - .actual_access:  read_only
        .address_space:  global
        .offset:         64
        .size:           8
        .value_kind:     global_buffer
      - .offset:         72
        .size:           8
        .value_kind:     by_value
      - .offset:         80
        .size:           8
        .value_kind:     by_value
      - .offset:         88
        .size:           8
        .value_kind:     by_value
      - .address_space:  global
        .offset:         96
        .size:           8
        .value_kind:     global_buffer
      - .offset:         104
        .size:           8
        .value_kind:     by_value
      - .offset:         112
        .size:           8
        .value_kind:     by_value
      - .offset:         120
        .size:           4
        .value_kind:     by_value
      - .offset:         124
        .size:           4
        .value_kind:     by_value
      - .offset:         128
        .size:           1
        .value_kind:     by_value
      - .offset:         136
        .size:           4
        .value_kind:     hidden_block_count_x
      - .offset:         140
        .size:           4
        .value_kind:     hidden_block_count_y
      - .offset:         144
        .size:           4
        .value_kind:     hidden_block_count_z
      - .offset:         148
        .size:           2
        .value_kind:     hidden_group_size_x
      - .offset:         150
        .size:           2
        .value_kind:     hidden_group_size_y
      - .offset:         152
        .size:           2
        .value_kind:     hidden_group_size_z
      - .offset:         154
        .size:           2
        .value_kind:     hidden_remainder_x
      - .offset:         156
        .size:           2
        .value_kind:     hidden_remainder_y
      - .offset:         158
        .size:           2
        .value_kind:     hidden_remainder_z
      - .offset:         176
        .size:           8
        .value_kind:     hidden_global_offset_x
      - .offset:         184
        .size:           8
        .value_kind:     hidden_global_offset_y
      - .offset:         192
        .size:           8
        .value_kind:     hidden_global_offset_z
      - .offset:         200
        .size:           2
        .value_kind:     hidden_grid_dims
    .group_segment_fixed_size: 1024
    .kernarg_segment_align: 8
    .kernarg_segment_size: 392
    .language:       OpenCL C
    .language_version:
      - 2
      - 0
    .max_flat_workgroup_size: 64
    .name:           _ZN9rocsparseL29bsrmmnn_small_blockdim_kernelILj64ELj8ELj2EliffffEEv20rocsparse_direction_T3_S2_llNS_24const_host_device_scalarIT7_EEPKT2_PKS2_PKT4_PKT5_llS5_PT6_ll16rocsparse_order_21rocsparse_index_base_b
    .private_segment_fixed_size: 0
    .sgpr_count:     30
    .sgpr_spill_count: 0
    .symbol:         _ZN9rocsparseL29bsrmmnn_small_blockdim_kernelILj64ELj8ELj2EliffffEEv20rocsparse_direction_T3_S2_llNS_24const_host_device_scalarIT7_EEPKT2_PKS2_PKT4_PKT5_llS5_PT6_ll16rocsparse_order_21rocsparse_index_base_b.kd
    .uniform_work_group_size: 1
    .uses_dynamic_stack: false
    .vgpr_count:     57
    .vgpr_spill_count: 0
    .wavefront_size: 32
    .workgroup_processor_mode: 1
  - .args:
      - .offset:         0
        .size:           4
        .value_kind:     by_value
      - .offset:         8
        .size:           8
        .value_kind:     by_value
      - .offset:         16
        .size:           8
        .value_kind:     by_value
      - .offset:         24
        .size:           8
        .value_kind:     by_value
      - .offset:         32
        .size:           8
        .value_kind:     by_value
      - .offset:         40
        .size:           8
        .value_kind:     by_value
      - .actual_access:  read_only
        .address_space:  global
        .offset:         48
        .size:           8
        .value_kind:     global_buffer
      - .actual_access:  read_only
        .address_space:  global
        .offset:         56
        .size:           8
        .value_kind:     global_buffer
      - .actual_access:  read_only
        .address_space:  global
        .offset:         64
        .size:           8
        .value_kind:     global_buffer
      - .actual_access:  read_only
        .address_space:  global
        .offset:         72
        .size:           8
        .value_kind:     global_buffer
      - .offset:         80
        .size:           8
        .value_kind:     by_value
      - .offset:         88
        .size:           8
        .value_kind:     by_value
      - .offset:         96
        .size:           8
        .value_kind:     by_value
      - .address_space:  global
        .offset:         104
        .size:           8
        .value_kind:     global_buffer
      - .offset:         112
        .size:           8
        .value_kind:     by_value
      - .offset:         120
        .size:           8
        .value_kind:     by_value
      - .offset:         128
        .size:           4
        .value_kind:     by_value
      - .offset:         132
        .size:           4
        .value_kind:     by_value
      - .offset:         136
        .size:           1
        .value_kind:     by_value
      - .offset:         144
        .size:           4
        .value_kind:     hidden_block_count_x
      - .offset:         148
        .size:           4
        .value_kind:     hidden_block_count_y
      - .offset:         152
        .size:           4
        .value_kind:     hidden_block_count_z
      - .offset:         156
        .size:           2
        .value_kind:     hidden_group_size_x
      - .offset:         158
        .size:           2
        .value_kind:     hidden_group_size_y
      - .offset:         160
        .size:           2
        .value_kind:     hidden_group_size_z
      - .offset:         162
        .size:           2
        .value_kind:     hidden_remainder_x
      - .offset:         164
        .size:           2
        .value_kind:     hidden_remainder_y
      - .offset:         166
        .size:           2
        .value_kind:     hidden_remainder_z
      - .offset:         184
        .size:           8
        .value_kind:     hidden_global_offset_x
      - .offset:         192
        .size:           8
        .value_kind:     hidden_global_offset_y
      - .offset:         200
        .size:           8
        .value_kind:     hidden_global_offset_z
      - .offset:         208
        .size:           2
        .value_kind:     hidden_grid_dims
    .group_segment_fixed_size: 1280
    .kernarg_segment_align: 8
    .kernarg_segment_size: 400
    .language:       OpenCL C
    .language_version:
      - 2
      - 0
    .max_flat_workgroup_size: 64
    .name:           _ZN9rocsparseL29bsrmmnn_small_blockdim_kernelILj64ELj8ELj2EllffffEEv20rocsparse_direction_T3_S2_llNS_24const_host_device_scalarIT7_EEPKT2_PKS2_PKT4_PKT5_llS5_PT6_ll16rocsparse_order_21rocsparse_index_base_b
    .private_segment_fixed_size: 0
    .sgpr_count:     30
    .sgpr_spill_count: 0
    .symbol:         _ZN9rocsparseL29bsrmmnn_small_blockdim_kernelILj64ELj8ELj2EllffffEEv20rocsparse_direction_T3_S2_llNS_24const_host_device_scalarIT7_EEPKT2_PKS2_PKT4_PKT5_llS5_PT6_ll16rocsparse_order_21rocsparse_index_base_b.kd
    .uniform_work_group_size: 1
    .uses_dynamic_stack: false
    .vgpr_count:     57
    .vgpr_spill_count: 0
    .wavefront_size: 32
    .workgroup_processor_mode: 1
  - .args:
      - .offset:         0
        .size:           4
        .value_kind:     by_value
      - .offset:         4
        .size:           4
        .value_kind:     by_value
      - .offset:         8
        .size:           4
        .value_kind:     by_value
      - .offset:         16
        .size:           8
        .value_kind:     by_value
      - .offset:         24
        .size:           8
        .value_kind:     by_value
      - .offset:         32
        .size:           8
        .value_kind:     by_value
      - .actual_access:  read_only
        .address_space:  global
        .offset:         40
        .size:           8
        .value_kind:     global_buffer
      - .actual_access:  read_only
        .address_space:  global
        .offset:         48
        .size:           8
        .value_kind:     global_buffer
      - .actual_access:  read_only
        .address_space:  global
        .offset:         56
        .size:           8
        .value_kind:     global_buffer
      - .actual_access:  read_only
        .address_space:  global
        .offset:         64
        .size:           8
        .value_kind:     global_buffer
      - .offset:         72
        .size:           8
        .value_kind:     by_value
      - .offset:         80
        .size:           8
        .value_kind:     by_value
      - .offset:         88
        .size:           8
        .value_kind:     by_value
      - .address_space:  global
        .offset:         96
        .size:           8
        .value_kind:     global_buffer
      - .offset:         104
        .size:           8
        .value_kind:     by_value
      - .offset:         112
        .size:           8
        .value_kind:     by_value
      - .offset:         120
        .size:           4
        .value_kind:     by_value
      - .offset:         124
        .size:           4
        .value_kind:     by_value
      - .offset:         128
        .size:           1
        .value_kind:     by_value
      - .offset:         136
        .size:           4
        .value_kind:     hidden_block_count_x
      - .offset:         140
        .size:           4
        .value_kind:     hidden_block_count_y
      - .offset:         144
        .size:           4
        .value_kind:     hidden_block_count_z
      - .offset:         148
        .size:           2
        .value_kind:     hidden_group_size_x
      - .offset:         150
        .size:           2
        .value_kind:     hidden_group_size_y
      - .offset:         152
        .size:           2
        .value_kind:     hidden_group_size_z
      - .offset:         154
        .size:           2
        .value_kind:     hidden_remainder_x
      - .offset:         156
        .size:           2
        .value_kind:     hidden_remainder_y
      - .offset:         158
        .size:           2
        .value_kind:     hidden_remainder_z
      - .offset:         176
        .size:           8
        .value_kind:     hidden_global_offset_x
      - .offset:         184
        .size:           8
        .value_kind:     hidden_global_offset_y
      - .offset:         192
        .size:           8
        .value_kind:     hidden_global_offset_z
      - .offset:         200
        .size:           2
        .value_kind:     hidden_grid_dims
    .group_segment_fixed_size: 1792
    .kernarg_segment_align: 8
    .kernarg_segment_size: 392
    .language:       OpenCL C
    .language_version:
      - 2
      - 0
    .max_flat_workgroup_size: 64
    .name:           _ZN9rocsparseL29bsrmmnn_small_blockdim_kernelILj64ELj8ELj2EiiddddEEv20rocsparse_direction_T3_S2_llNS_24const_host_device_scalarIT7_EEPKT2_PKS2_PKT4_PKT5_llS5_PT6_ll16rocsparse_order_21rocsparse_index_base_b
    .private_segment_fixed_size: 0
    .sgpr_count:     30
    .sgpr_spill_count: 0
    .symbol:         _ZN9rocsparseL29bsrmmnn_small_blockdim_kernelILj64ELj8ELj2EiiddddEEv20rocsparse_direction_T3_S2_llNS_24const_host_device_scalarIT7_EEPKT2_PKS2_PKT4_PKT5_llS5_PT6_ll16rocsparse_order_21rocsparse_index_base_b.kd
    .uniform_work_group_size: 1
    .uses_dynamic_stack: false
    .vgpr_count:     61
    .vgpr_spill_count: 0
    .wavefront_size: 32
    .workgroup_processor_mode: 1
  - .args:
      - .offset:         0
        .size:           4
        .value_kind:     by_value
      - .offset:         4
        .size:           4
        .value_kind:     by_value
      - .offset:         8
        .size:           4
        .value_kind:     by_value
      - .offset:         16
        .size:           8
        .value_kind:     by_value
      - .offset:         24
        .size:           8
        .value_kind:     by_value
      - .offset:         32
        .size:           8
        .value_kind:     by_value
      - .actual_access:  read_only
        .address_space:  global
        .offset:         40
        .size:           8
        .value_kind:     global_buffer
      - .actual_access:  read_only
        .address_space:  global
        .offset:         48
        .size:           8
        .value_kind:     global_buffer
      - .actual_access:  read_only
        .address_space:  global
        .offset:         56
        .size:           8
        .value_kind:     global_buffer
      - .actual_access:  read_only
        .address_space:  global
        .offset:         64
        .size:           8
        .value_kind:     global_buffer
      - .offset:         72
        .size:           8
        .value_kind:     by_value
      - .offset:         80
        .size:           8
        .value_kind:     by_value
      - .offset:         88
        .size:           8
        .value_kind:     by_value
      - .address_space:  global
        .offset:         96
        .size:           8
        .value_kind:     global_buffer
      - .offset:         104
        .size:           8
        .value_kind:     by_value
      - .offset:         112
        .size:           8
        .value_kind:     by_value
      - .offset:         120
        .size:           4
        .value_kind:     by_value
      - .offset:         124
        .size:           4
        .value_kind:     by_value
      - .offset:         128
        .size:           1
        .value_kind:     by_value
      - .offset:         136
        .size:           4
        .value_kind:     hidden_block_count_x
      - .offset:         140
        .size:           4
        .value_kind:     hidden_block_count_y
      - .offset:         144
        .size:           4
        .value_kind:     hidden_block_count_z
      - .offset:         148
        .size:           2
        .value_kind:     hidden_group_size_x
      - .offset:         150
        .size:           2
        .value_kind:     hidden_group_size_y
      - .offset:         152
        .size:           2
        .value_kind:     hidden_group_size_z
      - .offset:         154
        .size:           2
        .value_kind:     hidden_remainder_x
      - .offset:         156
        .size:           2
        .value_kind:     hidden_remainder_y
      - .offset:         158
        .size:           2
        .value_kind:     hidden_remainder_z
      - .offset:         176
        .size:           8
        .value_kind:     hidden_global_offset_x
      - .offset:         184
        .size:           8
        .value_kind:     hidden_global_offset_y
      - .offset:         192
        .size:           8
        .value_kind:     hidden_global_offset_z
      - .offset:         200
        .size:           2
        .value_kind:     hidden_grid_dims
    .group_segment_fixed_size: 1792
    .kernarg_segment_align: 8
    .kernarg_segment_size: 392
    .language:       OpenCL C
    .language_version:
      - 2
      - 0
    .max_flat_workgroup_size: 64
    .name:           _ZN9rocsparseL29bsrmmnn_small_blockdim_kernelILj64ELj8ELj2EliddddEEv20rocsparse_direction_T3_S2_llNS_24const_host_device_scalarIT7_EEPKT2_PKS2_PKT4_PKT5_llS5_PT6_ll16rocsparse_order_21rocsparse_index_base_b
    .private_segment_fixed_size: 0
    .sgpr_count:     30
    .sgpr_spill_count: 0
    .symbol:         _ZN9rocsparseL29bsrmmnn_small_blockdim_kernelILj64ELj8ELj2EliddddEEv20rocsparse_direction_T3_S2_llNS_24const_host_device_scalarIT7_EEPKT2_PKS2_PKT4_PKT5_llS5_PT6_ll16rocsparse_order_21rocsparse_index_base_b.kd
    .uniform_work_group_size: 1
    .uses_dynamic_stack: false
    .vgpr_count:     70
    .vgpr_spill_count: 0
    .wavefront_size: 32
    .workgroup_processor_mode: 1
  - .args:
      - .offset:         0
        .size:           4
        .value_kind:     by_value
      - .offset:         8
        .size:           8
        .value_kind:     by_value
      - .offset:         16
        .size:           8
        .value_kind:     by_value
      - .offset:         24
        .size:           8
        .value_kind:     by_value
      - .offset:         32
        .size:           8
        .value_kind:     by_value
      - .offset:         40
        .size:           8
        .value_kind:     by_value
      - .actual_access:  read_only
        .address_space:  global
        .offset:         48
        .size:           8
        .value_kind:     global_buffer
      - .actual_access:  read_only
        .address_space:  global
        .offset:         56
        .size:           8
        .value_kind:     global_buffer
      - .actual_access:  read_only
        .address_space:  global
        .offset:         64
        .size:           8
        .value_kind:     global_buffer
      - .actual_access:  read_only
        .address_space:  global
        .offset:         72
        .size:           8
        .value_kind:     global_buffer
      - .offset:         80
        .size:           8
        .value_kind:     by_value
      - .offset:         88
        .size:           8
        .value_kind:     by_value
      - .offset:         96
        .size:           8
        .value_kind:     by_value
      - .address_space:  global
        .offset:         104
        .size:           8
        .value_kind:     global_buffer
      - .offset:         112
        .size:           8
        .value_kind:     by_value
      - .offset:         120
        .size:           8
        .value_kind:     by_value
      - .offset:         128
        .size:           4
        .value_kind:     by_value
      - .offset:         132
        .size:           4
        .value_kind:     by_value
      - .offset:         136
        .size:           1
        .value_kind:     by_value
      - .offset:         144
        .size:           4
        .value_kind:     hidden_block_count_x
      - .offset:         148
        .size:           4
        .value_kind:     hidden_block_count_y
      - .offset:         152
        .size:           4
        .value_kind:     hidden_block_count_z
      - .offset:         156
        .size:           2
        .value_kind:     hidden_group_size_x
      - .offset:         158
        .size:           2
        .value_kind:     hidden_group_size_y
      - .offset:         160
        .size:           2
        .value_kind:     hidden_group_size_z
      - .offset:         162
        .size:           2
        .value_kind:     hidden_remainder_x
      - .offset:         164
        .size:           2
        .value_kind:     hidden_remainder_y
      - .offset:         166
        .size:           2
        .value_kind:     hidden_remainder_z
      - .offset:         184
        .size:           8
        .value_kind:     hidden_global_offset_x
      - .offset:         192
        .size:           8
        .value_kind:     hidden_global_offset_y
      - .offset:         200
        .size:           8
        .value_kind:     hidden_global_offset_z
      - .offset:         208
        .size:           2
        .value_kind:     hidden_grid_dims
    .group_segment_fixed_size: 2048
    .kernarg_segment_align: 8
    .kernarg_segment_size: 400
    .language:       OpenCL C
    .language_version:
      - 2
      - 0
    .max_flat_workgroup_size: 64
    .name:           _ZN9rocsparseL29bsrmmnn_small_blockdim_kernelILj64ELj8ELj2EllddddEEv20rocsparse_direction_T3_S2_llNS_24const_host_device_scalarIT7_EEPKT2_PKS2_PKT4_PKT5_llS5_PT6_ll16rocsparse_order_21rocsparse_index_base_b
    .private_segment_fixed_size: 0
    .sgpr_count:     30
    .sgpr_spill_count: 0
    .symbol:         _ZN9rocsparseL29bsrmmnn_small_blockdim_kernelILj64ELj8ELj2EllddddEEv20rocsparse_direction_T3_S2_llNS_24const_host_device_scalarIT7_EEPKT2_PKS2_PKT4_PKT5_llS5_PT6_ll16rocsparse_order_21rocsparse_index_base_b.kd
    .uniform_work_group_size: 1
    .uses_dynamic_stack: false
    .vgpr_count:     76
    .vgpr_spill_count: 0
    .wavefront_size: 32
    .workgroup_processor_mode: 1
  - .args:
      - .offset:         0
        .size:           4
        .value_kind:     by_value
      - .offset:         4
        .size:           4
        .value_kind:     by_value
      - .offset:         8
        .size:           4
        .value_kind:     by_value
      - .offset:         16
        .size:           8
        .value_kind:     by_value
      - .offset:         24
        .size:           8
        .value_kind:     by_value
      - .offset:         32
        .size:           8
        .value_kind:     by_value
      - .actual_access:  read_only
        .address_space:  global
        .offset:         40
        .size:           8
        .value_kind:     global_buffer
      - .actual_access:  read_only
        .address_space:  global
        .offset:         48
        .size:           8
        .value_kind:     global_buffer
      - .actual_access:  read_only
        .address_space:  global
        .offset:         56
        .size:           8
        .value_kind:     global_buffer
      - .actual_access:  read_only
        .address_space:  global
        .offset:         64
        .size:           8
        .value_kind:     global_buffer
      - .offset:         72
        .size:           8
        .value_kind:     by_value
      - .offset:         80
        .size:           8
        .value_kind:     by_value
      - .offset:         88
        .size:           8
        .value_kind:     by_value
      - .address_space:  global
        .offset:         96
        .size:           8
        .value_kind:     global_buffer
      - .offset:         104
        .size:           8
        .value_kind:     by_value
      - .offset:         112
        .size:           8
        .value_kind:     by_value
      - .offset:         120
        .size:           4
        .value_kind:     by_value
      - .offset:         124
        .size:           4
        .value_kind:     by_value
      - .offset:         128
        .size:           1
        .value_kind:     by_value
      - .offset:         136
        .size:           4
        .value_kind:     hidden_block_count_x
      - .offset:         140
        .size:           4
        .value_kind:     hidden_block_count_y
      - .offset:         144
        .size:           4
        .value_kind:     hidden_block_count_z
      - .offset:         148
        .size:           2
        .value_kind:     hidden_group_size_x
      - .offset:         150
        .size:           2
        .value_kind:     hidden_group_size_y
      - .offset:         152
        .size:           2
        .value_kind:     hidden_group_size_z
      - .offset:         154
        .size:           2
        .value_kind:     hidden_remainder_x
      - .offset:         156
        .size:           2
        .value_kind:     hidden_remainder_y
      - .offset:         158
        .size:           2
        .value_kind:     hidden_remainder_z
      - .offset:         176
        .size:           8
        .value_kind:     hidden_global_offset_x
      - .offset:         184
        .size:           8
        .value_kind:     hidden_global_offset_y
      - .offset:         192
        .size:           8
        .value_kind:     hidden_global_offset_z
      - .offset:         200
        .size:           2
        .value_kind:     hidden_grid_dims
    .group_segment_fixed_size: 1792
    .kernarg_segment_align: 8
    .kernarg_segment_size: 392
    .language:       OpenCL C
    .language_version:
      - 2
      - 0
    .max_flat_workgroup_size: 64
    .name:           _ZN9rocsparseL29bsrmmnn_small_blockdim_kernelILj64ELj8ELj2Eii21rocsparse_complex_numIfES2_S2_S2_EEv20rocsparse_direction_T3_S4_llNS_24const_host_device_scalarIT7_EEPKT2_PKS4_PKT4_PKT5_llS7_PT6_ll16rocsparse_order_21rocsparse_index_base_b
    .private_segment_fixed_size: 0
    .sgpr_count:     30
    .sgpr_spill_count: 0
    .symbol:         _ZN9rocsparseL29bsrmmnn_small_blockdim_kernelILj64ELj8ELj2Eii21rocsparse_complex_numIfES2_S2_S2_EEv20rocsparse_direction_T3_S4_llNS_24const_host_device_scalarIT7_EEPKT2_PKS4_PKT4_PKT5_llS7_PT6_ll16rocsparse_order_21rocsparse_index_base_b.kd
    .uniform_work_group_size: 1
    .uses_dynamic_stack: false
    .vgpr_count:     67
    .vgpr_spill_count: 0
    .wavefront_size: 32
    .workgroup_processor_mode: 1
  - .args:
      - .offset:         0
        .size:           4
        .value_kind:     by_value
      - .offset:         4
        .size:           4
        .value_kind:     by_value
      - .offset:         8
        .size:           4
        .value_kind:     by_value
      - .offset:         16
        .size:           8
        .value_kind:     by_value
      - .offset:         24
        .size:           8
        .value_kind:     by_value
      - .offset:         32
        .size:           8
        .value_kind:     by_value
      - .actual_access:  read_only
        .address_space:  global
        .offset:         40
        .size:           8
        .value_kind:     global_buffer
      - .actual_access:  read_only
        .address_space:  global
        .offset:         48
        .size:           8
        .value_kind:     global_buffer
      - .actual_access:  read_only
        .address_space:  global
        .offset:         56
        .size:           8
        .value_kind:     global_buffer
      - .actual_access:  read_only
        .address_space:  global
        .offset:         64
        .size:           8
        .value_kind:     global_buffer
      - .offset:         72
        .size:           8
        .value_kind:     by_value
      - .offset:         80
        .size:           8
        .value_kind:     by_value
      - .offset:         88
        .size:           8
        .value_kind:     by_value
      - .address_space:  global
        .offset:         96
        .size:           8
        .value_kind:     global_buffer
      - .offset:         104
        .size:           8
        .value_kind:     by_value
      - .offset:         112
        .size:           8
        .value_kind:     by_value
      - .offset:         120
        .size:           4
        .value_kind:     by_value
      - .offset:         124
        .size:           4
        .value_kind:     by_value
      - .offset:         128
        .size:           1
        .value_kind:     by_value
      - .offset:         136
        .size:           4
        .value_kind:     hidden_block_count_x
      - .offset:         140
        .size:           4
        .value_kind:     hidden_block_count_y
      - .offset:         144
        .size:           4
        .value_kind:     hidden_block_count_z
      - .offset:         148
        .size:           2
        .value_kind:     hidden_group_size_x
      - .offset:         150
        .size:           2
        .value_kind:     hidden_group_size_y
      - .offset:         152
        .size:           2
        .value_kind:     hidden_group_size_z
      - .offset:         154
        .size:           2
        .value_kind:     hidden_remainder_x
      - .offset:         156
        .size:           2
        .value_kind:     hidden_remainder_y
      - .offset:         158
        .size:           2
        .value_kind:     hidden_remainder_z
      - .offset:         176
        .size:           8
        .value_kind:     hidden_global_offset_x
      - .offset:         184
        .size:           8
        .value_kind:     hidden_global_offset_y
      - .offset:         192
        .size:           8
        .value_kind:     hidden_global_offset_z
      - .offset:         200
        .size:           2
        .value_kind:     hidden_grid_dims
    .group_segment_fixed_size: 1792
    .kernarg_segment_align: 8
    .kernarg_segment_size: 392
    .language:       OpenCL C
    .language_version:
      - 2
      - 0
    .max_flat_workgroup_size: 64
    .name:           _ZN9rocsparseL29bsrmmnn_small_blockdim_kernelILj64ELj8ELj2Eli21rocsparse_complex_numIfES2_S2_S2_EEv20rocsparse_direction_T3_S4_llNS_24const_host_device_scalarIT7_EEPKT2_PKS4_PKT4_PKT5_llS7_PT6_ll16rocsparse_order_21rocsparse_index_base_b
    .private_segment_fixed_size: 0
    .sgpr_count:     30
    .sgpr_spill_count: 0
    .symbol:         _ZN9rocsparseL29bsrmmnn_small_blockdim_kernelILj64ELj8ELj2Eli21rocsparse_complex_numIfES2_S2_S2_EEv20rocsparse_direction_T3_S4_llNS_24const_host_device_scalarIT7_EEPKT2_PKS4_PKT4_PKT5_llS7_PT6_ll16rocsparse_order_21rocsparse_index_base_b.kd
    .uniform_work_group_size: 1
    .uses_dynamic_stack: false
    .vgpr_count:     76
    .vgpr_spill_count: 0
    .wavefront_size: 32
    .workgroup_processor_mode: 1
  - .args:
      - .offset:         0
        .size:           4
        .value_kind:     by_value
      - .offset:         8
        .size:           8
        .value_kind:     by_value
      - .offset:         16
        .size:           8
        .value_kind:     by_value
      - .offset:         24
        .size:           8
        .value_kind:     by_value
      - .offset:         32
        .size:           8
        .value_kind:     by_value
      - .offset:         40
        .size:           8
        .value_kind:     by_value
      - .actual_access:  read_only
        .address_space:  global
        .offset:         48
        .size:           8
        .value_kind:     global_buffer
      - .actual_access:  read_only
        .address_space:  global
        .offset:         56
        .size:           8
        .value_kind:     global_buffer
      - .actual_access:  read_only
        .address_space:  global
        .offset:         64
        .size:           8
        .value_kind:     global_buffer
      - .actual_access:  read_only
        .address_space:  global
        .offset:         72
        .size:           8
        .value_kind:     global_buffer
      - .offset:         80
        .size:           8
        .value_kind:     by_value
      - .offset:         88
        .size:           8
        .value_kind:     by_value
      - .offset:         96
        .size:           8
        .value_kind:     by_value
      - .address_space:  global
        .offset:         104
        .size:           8
        .value_kind:     global_buffer
      - .offset:         112
        .size:           8
        .value_kind:     by_value
      - .offset:         120
        .size:           8
        .value_kind:     by_value
      - .offset:         128
        .size:           4
        .value_kind:     by_value
      - .offset:         132
        .size:           4
        .value_kind:     by_value
      - .offset:         136
        .size:           1
        .value_kind:     by_value
      - .offset:         144
        .size:           4
        .value_kind:     hidden_block_count_x
      - .offset:         148
        .size:           4
        .value_kind:     hidden_block_count_y
      - .offset:         152
        .size:           4
        .value_kind:     hidden_block_count_z
      - .offset:         156
        .size:           2
        .value_kind:     hidden_group_size_x
      - .offset:         158
        .size:           2
        .value_kind:     hidden_group_size_y
      - .offset:         160
        .size:           2
        .value_kind:     hidden_group_size_z
      - .offset:         162
        .size:           2
        .value_kind:     hidden_remainder_x
      - .offset:         164
        .size:           2
        .value_kind:     hidden_remainder_y
      - .offset:         166
        .size:           2
        .value_kind:     hidden_remainder_z
      - .offset:         184
        .size:           8
        .value_kind:     hidden_global_offset_x
      - .offset:         192
        .size:           8
        .value_kind:     hidden_global_offset_y
      - .offset:         200
        .size:           8
        .value_kind:     hidden_global_offset_z
      - .offset:         208
        .size:           2
        .value_kind:     hidden_grid_dims
    .group_segment_fixed_size: 2048
    .kernarg_segment_align: 8
    .kernarg_segment_size: 400
    .language:       OpenCL C
    .language_version:
      - 2
      - 0
    .max_flat_workgroup_size: 64
    .name:           _ZN9rocsparseL29bsrmmnn_small_blockdim_kernelILj64ELj8ELj2Ell21rocsparse_complex_numIfES2_S2_S2_EEv20rocsparse_direction_T3_S4_llNS_24const_host_device_scalarIT7_EEPKT2_PKS4_PKT4_PKT5_llS7_PT6_ll16rocsparse_order_21rocsparse_index_base_b
    .private_segment_fixed_size: 0
    .sgpr_count:     30
    .sgpr_spill_count: 0
    .symbol:         _ZN9rocsparseL29bsrmmnn_small_blockdim_kernelILj64ELj8ELj2Ell21rocsparse_complex_numIfES2_S2_S2_EEv20rocsparse_direction_T3_S4_llNS_24const_host_device_scalarIT7_EEPKT2_PKS4_PKT4_PKT5_llS7_PT6_ll16rocsparse_order_21rocsparse_index_base_b.kd
    .uniform_work_group_size: 1
    .uses_dynamic_stack: false
    .vgpr_count:     78
    .vgpr_spill_count: 0
    .wavefront_size: 32
    .workgroup_processor_mode: 1
  - .args:
      - .offset:         0
        .size:           4
        .value_kind:     by_value
      - .offset:         4
        .size:           4
        .value_kind:     by_value
      - .offset:         8
        .size:           4
        .value_kind:     by_value
      - .offset:         16
        .size:           8
        .value_kind:     by_value
      - .offset:         24
        .size:           8
        .value_kind:     by_value
      - .offset:         32
        .size:           16
        .value_kind:     by_value
      - .actual_access:  read_only
        .address_space:  global
        .offset:         48
        .size:           8
        .value_kind:     global_buffer
      - .actual_access:  read_only
        .address_space:  global
        .offset:         56
        .size:           8
        .value_kind:     global_buffer
      - .actual_access:  read_only
        .address_space:  global
        .offset:         64
        .size:           8
        .value_kind:     global_buffer
      - .actual_access:  read_only
        .address_space:  global
        .offset:         72
        .size:           8
        .value_kind:     global_buffer
      - .offset:         80
        .size:           8
        .value_kind:     by_value
      - .offset:         88
        .size:           8
        .value_kind:     by_value
      - .offset:         96
        .size:           16
        .value_kind:     by_value
      - .address_space:  global
        .offset:         112
        .size:           8
        .value_kind:     global_buffer
      - .offset:         120
        .size:           8
        .value_kind:     by_value
      - .offset:         128
        .size:           8
        .value_kind:     by_value
      - .offset:         136
        .size:           4
        .value_kind:     by_value
      - .offset:         140
        .size:           4
        .value_kind:     by_value
      - .offset:         144
        .size:           1
        .value_kind:     by_value
      - .offset:         152
        .size:           4
        .value_kind:     hidden_block_count_x
      - .offset:         156
        .size:           4
        .value_kind:     hidden_block_count_y
      - .offset:         160
        .size:           4
        .value_kind:     hidden_block_count_z
      - .offset:         164
        .size:           2
        .value_kind:     hidden_group_size_x
      - .offset:         166
        .size:           2
        .value_kind:     hidden_group_size_y
      - .offset:         168
        .size:           2
        .value_kind:     hidden_group_size_z
      - .offset:         170
        .size:           2
        .value_kind:     hidden_remainder_x
      - .offset:         172
        .size:           2
        .value_kind:     hidden_remainder_y
      - .offset:         174
        .size:           2
        .value_kind:     hidden_remainder_z
      - .offset:         192
        .size:           8
        .value_kind:     hidden_global_offset_x
      - .offset:         200
        .size:           8
        .value_kind:     hidden_global_offset_y
      - .offset:         208
        .size:           8
        .value_kind:     hidden_global_offset_z
      - .offset:         216
        .size:           2
        .value_kind:     hidden_grid_dims
    .group_segment_fixed_size: 3840
    .kernarg_segment_align: 8
    .kernarg_segment_size: 408
    .language:       OpenCL C
    .language_version:
      - 2
      - 0
    .max_flat_workgroup_size: 64
    .name:           _ZN9rocsparseL29bsrmmnn_small_blockdim_kernelILj64ELj8ELj2Eii21rocsparse_complex_numIdES2_S2_S2_EEv20rocsparse_direction_T3_S4_llNS_24const_host_device_scalarIT7_EEPKT2_PKS4_PKT4_PKT5_llS7_PT6_ll16rocsparse_order_21rocsparse_index_base_b
    .private_segment_fixed_size: 16
    .sgpr_count:     30
    .sgpr_spill_count: 0
    .symbol:         _ZN9rocsparseL29bsrmmnn_small_blockdim_kernelILj64ELj8ELj2Eii21rocsparse_complex_numIdES2_S2_S2_EEv20rocsparse_direction_T3_S4_llNS_24const_host_device_scalarIT7_EEPKT2_PKS4_PKT4_PKT5_llS7_PT6_ll16rocsparse_order_21rocsparse_index_base_b.kd
    .uniform_work_group_size: 1
    .uses_dynamic_stack: false
    .vgpr_count:     71
    .vgpr_spill_count: 0
    .wavefront_size: 32
    .workgroup_processor_mode: 1
  - .args:
      - .offset:         0
        .size:           4
        .value_kind:     by_value
      - .offset:         4
        .size:           4
        .value_kind:     by_value
      - .offset:         8
        .size:           4
        .value_kind:     by_value
      - .offset:         16
        .size:           8
        .value_kind:     by_value
      - .offset:         24
        .size:           8
        .value_kind:     by_value
      - .offset:         32
        .size:           16
        .value_kind:     by_value
      - .actual_access:  read_only
        .address_space:  global
        .offset:         48
        .size:           8
        .value_kind:     global_buffer
      - .actual_access:  read_only
        .address_space:  global
        .offset:         56
        .size:           8
        .value_kind:     global_buffer
      - .actual_access:  read_only
        .address_space:  global
        .offset:         64
        .size:           8
        .value_kind:     global_buffer
      - .actual_access:  read_only
        .address_space:  global
        .offset:         72
        .size:           8
        .value_kind:     global_buffer
      - .offset:         80
        .size:           8
        .value_kind:     by_value
      - .offset:         88
        .size:           8
        .value_kind:     by_value
      - .offset:         96
        .size:           16
        .value_kind:     by_value
      - .address_space:  global
        .offset:         112
        .size:           8
        .value_kind:     global_buffer
      - .offset:         120
        .size:           8
        .value_kind:     by_value
      - .offset:         128
        .size:           8
        .value_kind:     by_value
      - .offset:         136
        .size:           4
        .value_kind:     by_value
      - .offset:         140
        .size:           4
        .value_kind:     by_value
      - .offset:         144
        .size:           1
        .value_kind:     by_value
      - .offset:         152
        .size:           4
        .value_kind:     hidden_block_count_x
      - .offset:         156
        .size:           4
        .value_kind:     hidden_block_count_y
      - .offset:         160
        .size:           4
        .value_kind:     hidden_block_count_z
      - .offset:         164
        .size:           2
        .value_kind:     hidden_group_size_x
      - .offset:         166
        .size:           2
        .value_kind:     hidden_group_size_y
      - .offset:         168
        .size:           2
        .value_kind:     hidden_group_size_z
      - .offset:         170
        .size:           2
        .value_kind:     hidden_remainder_x
      - .offset:         172
        .size:           2
        .value_kind:     hidden_remainder_y
      - .offset:         174
        .size:           2
        .value_kind:     hidden_remainder_z
      - .offset:         192
        .size:           8
        .value_kind:     hidden_global_offset_x
      - .offset:         200
        .size:           8
        .value_kind:     hidden_global_offset_y
      - .offset:         208
        .size:           8
        .value_kind:     hidden_global_offset_z
      - .offset:         216
        .size:           2
        .value_kind:     hidden_grid_dims
    .group_segment_fixed_size: 3840
    .kernarg_segment_align: 8
    .kernarg_segment_size: 408
    .language:       OpenCL C
    .language_version:
      - 2
      - 0
    .max_flat_workgroup_size: 64
    .name:           _ZN9rocsparseL29bsrmmnn_small_blockdim_kernelILj64ELj8ELj2Eli21rocsparse_complex_numIdES2_S2_S2_EEv20rocsparse_direction_T3_S4_llNS_24const_host_device_scalarIT7_EEPKT2_PKS4_PKT4_PKT5_llS7_PT6_ll16rocsparse_order_21rocsparse_index_base_b
    .private_segment_fixed_size: 16
    .sgpr_count:     30
    .sgpr_spill_count: 0
    .symbol:         _ZN9rocsparseL29bsrmmnn_small_blockdim_kernelILj64ELj8ELj2Eli21rocsparse_complex_numIdES2_S2_S2_EEv20rocsparse_direction_T3_S4_llNS_24const_host_device_scalarIT7_EEPKT2_PKS4_PKT4_PKT5_llS7_PT6_ll16rocsparse_order_21rocsparse_index_base_b.kd
    .uniform_work_group_size: 1
    .uses_dynamic_stack: false
    .vgpr_count:     78
    .vgpr_spill_count: 0
    .wavefront_size: 32
    .workgroup_processor_mode: 1
  - .args:
      - .offset:         0
        .size:           4
        .value_kind:     by_value
      - .offset:         8
        .size:           8
        .value_kind:     by_value
      - .offset:         16
        .size:           8
        .value_kind:     by_value
      - .offset:         24
        .size:           8
        .value_kind:     by_value
      - .offset:         32
        .size:           8
        .value_kind:     by_value
      - .offset:         40
        .size:           16
        .value_kind:     by_value
      - .actual_access:  read_only
        .address_space:  global
        .offset:         56
        .size:           8
        .value_kind:     global_buffer
      - .actual_access:  read_only
        .address_space:  global
        .offset:         64
        .size:           8
        .value_kind:     global_buffer
      - .actual_access:  read_only
        .address_space:  global
        .offset:         72
        .size:           8
        .value_kind:     global_buffer
      - .actual_access:  read_only
        .address_space:  global
        .offset:         80
        .size:           8
        .value_kind:     global_buffer
      - .offset:         88
        .size:           8
        .value_kind:     by_value
      - .offset:         96
        .size:           8
        .value_kind:     by_value
      - .offset:         104
        .size:           16
        .value_kind:     by_value
      - .address_space:  global
        .offset:         120
        .size:           8
        .value_kind:     global_buffer
      - .offset:         128
        .size:           8
        .value_kind:     by_value
      - .offset:         136
        .size:           8
        .value_kind:     by_value
      - .offset:         144
        .size:           4
        .value_kind:     by_value
      - .offset:         148
        .size:           4
        .value_kind:     by_value
      - .offset:         152
        .size:           1
        .value_kind:     by_value
      - .offset:         160
        .size:           4
        .value_kind:     hidden_block_count_x
      - .offset:         164
        .size:           4
        .value_kind:     hidden_block_count_y
      - .offset:         168
        .size:           4
        .value_kind:     hidden_block_count_z
      - .offset:         172
        .size:           2
        .value_kind:     hidden_group_size_x
      - .offset:         174
        .size:           2
        .value_kind:     hidden_group_size_y
      - .offset:         176
        .size:           2
        .value_kind:     hidden_group_size_z
      - .offset:         178
        .size:           2
        .value_kind:     hidden_remainder_x
      - .offset:         180
        .size:           2
        .value_kind:     hidden_remainder_y
      - .offset:         182
        .size:           2
        .value_kind:     hidden_remainder_z
      - .offset:         200
        .size:           8
        .value_kind:     hidden_global_offset_x
      - .offset:         208
        .size:           8
        .value_kind:     hidden_global_offset_y
      - .offset:         216
        .size:           8
        .value_kind:     hidden_global_offset_z
      - .offset:         224
        .size:           2
        .value_kind:     hidden_grid_dims
    .group_segment_fixed_size: 4096
    .kernarg_segment_align: 8
    .kernarg_segment_size: 416
    .language:       OpenCL C
    .language_version:
      - 2
      - 0
    .max_flat_workgroup_size: 64
    .name:           _ZN9rocsparseL29bsrmmnn_small_blockdim_kernelILj64ELj8ELj2Ell21rocsparse_complex_numIdES2_S2_S2_EEv20rocsparse_direction_T3_S4_llNS_24const_host_device_scalarIT7_EEPKT2_PKS4_PKT4_PKT5_llS7_PT6_ll16rocsparse_order_21rocsparse_index_base_b
    .private_segment_fixed_size: 16
    .sgpr_count:     30
    .sgpr_spill_count: 0
    .symbol:         _ZN9rocsparseL29bsrmmnn_small_blockdim_kernelILj64ELj8ELj2Ell21rocsparse_complex_numIdES2_S2_S2_EEv20rocsparse_direction_T3_S4_llNS_24const_host_device_scalarIT7_EEPKT2_PKS4_PKT4_PKT5_llS7_PT6_ll16rocsparse_order_21rocsparse_index_base_b.kd
    .uniform_work_group_size: 1
    .uses_dynamic_stack: false
    .vgpr_count:     80
    .vgpr_spill_count: 0
    .wavefront_size: 32
    .workgroup_processor_mode: 1
  - .args:
      - .offset:         0
        .size:           4
        .value_kind:     by_value
      - .offset:         4
        .size:           4
        .value_kind:     by_value
      - .offset:         8
        .size:           4
        .value_kind:     by_value
      - .offset:         16
        .size:           8
        .value_kind:     by_value
      - .offset:         24
        .size:           8
        .value_kind:     by_value
      - .offset:         32
        .size:           8
        .value_kind:     by_value
      - .actual_access:  read_only
        .address_space:  global
        .offset:         40
        .size:           8
        .value_kind:     global_buffer
      - .actual_access:  read_only
        .address_space:  global
        .offset:         48
        .size:           8
        .value_kind:     global_buffer
      - .actual_access:  read_only
        .address_space:  global
        .offset:         56
        .size:           8
        .value_kind:     global_buffer
      - .actual_access:  read_only
        .address_space:  global
        .offset:         64
        .size:           8
        .value_kind:     global_buffer
      - .offset:         72
        .size:           8
        .value_kind:     by_value
      - .offset:         80
        .size:           8
        .value_kind:     by_value
      - .offset:         88
        .size:           8
        .value_kind:     by_value
      - .address_space:  global
        .offset:         96
        .size:           8
        .value_kind:     global_buffer
      - .offset:         104
        .size:           8
        .value_kind:     by_value
      - .offset:         112
        .size:           8
        .value_kind:     by_value
      - .offset:         120
        .size:           4
        .value_kind:     by_value
      - .offset:         124
        .size:           4
        .value_kind:     by_value
      - .offset:         128
        .size:           1
        .value_kind:     by_value
      - .offset:         136
        .size:           4
        .value_kind:     hidden_block_count_x
      - .offset:         140
        .size:           4
        .value_kind:     hidden_block_count_y
      - .offset:         144
        .size:           4
        .value_kind:     hidden_block_count_z
      - .offset:         148
        .size:           2
        .value_kind:     hidden_group_size_x
      - .offset:         150
        .size:           2
        .value_kind:     hidden_group_size_y
      - .offset:         152
        .size:           2
        .value_kind:     hidden_group_size_z
      - .offset:         154
        .size:           2
        .value_kind:     hidden_remainder_x
      - .offset:         156
        .size:           2
        .value_kind:     hidden_remainder_y
      - .offset:         158
        .size:           2
        .value_kind:     hidden_remainder_z
      - .offset:         176
        .size:           8
        .value_kind:     hidden_global_offset_x
      - .offset:         184
        .size:           8
        .value_kind:     hidden_global_offset_y
      - .offset:         192
        .size:           8
        .value_kind:     hidden_global_offset_z
      - .offset:         200
        .size:           2
        .value_kind:     hidden_grid_dims
    .group_segment_fixed_size: 640
    .kernarg_segment_align: 8
    .kernarg_segment_size: 392
    .language:       OpenCL C
    .language_version:
      - 2
      - 0
    .max_flat_workgroup_size: 64
    .name:           _ZN9rocsparseL29bsrmmnn_small_blockdim_kernelILj64ELj8ELj2EiiDF16_DF16_ffEEv20rocsparse_direction_T3_S2_llNS_24const_host_device_scalarIT7_EEPKT2_PKS2_PKT4_PKT5_llS5_PT6_ll16rocsparse_order_21rocsparse_index_base_b
    .private_segment_fixed_size: 0
    .sgpr_count:     30
    .sgpr_spill_count: 0
    .symbol:         _ZN9rocsparseL29bsrmmnn_small_blockdim_kernelILj64ELj8ELj2EiiDF16_DF16_ffEEv20rocsparse_direction_T3_S2_llNS_24const_host_device_scalarIT7_EEPKT2_PKS2_PKT4_PKT5_llS5_PT6_ll16rocsparse_order_21rocsparse_index_base_b.kd
    .uniform_work_group_size: 1
    .uses_dynamic_stack: false
    .vgpr_count:     37
    .vgpr_spill_count: 0
    .wavefront_size: 32
    .workgroup_processor_mode: 1
  - .args:
      - .offset:         0
        .size:           4
        .value_kind:     by_value
      - .offset:         4
        .size:           4
        .value_kind:     by_value
      - .offset:         8
        .size:           4
        .value_kind:     by_value
      - .offset:         16
        .size:           8
        .value_kind:     by_value
      - .offset:         24
        .size:           8
        .value_kind:     by_value
      - .offset:         32
        .size:           8
        .value_kind:     by_value
      - .actual_access:  read_only
        .address_space:  global
        .offset:         40
        .size:           8
        .value_kind:     global_buffer
      - .actual_access:  read_only
        .address_space:  global
        .offset:         48
        .size:           8
        .value_kind:     global_buffer
      - .actual_access:  read_only
        .address_space:  global
        .offset:         56
        .size:           8
        .value_kind:     global_buffer
      - .actual_access:  read_only
        .address_space:  global
        .offset:         64
        .size:           8
        .value_kind:     global_buffer
      - .offset:         72
        .size:           8
        .value_kind:     by_value
      - .offset:         80
        .size:           8
        .value_kind:     by_value
      - .offset:         88
        .size:           8
        .value_kind:     by_value
      - .address_space:  global
        .offset:         96
        .size:           8
        .value_kind:     global_buffer
      - .offset:         104
        .size:           8
        .value_kind:     by_value
      - .offset:         112
        .size:           8
        .value_kind:     by_value
      - .offset:         120
        .size:           4
        .value_kind:     by_value
      - .offset:         124
        .size:           4
        .value_kind:     by_value
      - .offset:         128
        .size:           1
        .value_kind:     by_value
      - .offset:         136
        .size:           4
        .value_kind:     hidden_block_count_x
      - .offset:         140
        .size:           4
        .value_kind:     hidden_block_count_y
      - .offset:         144
        .size:           4
        .value_kind:     hidden_block_count_z
      - .offset:         148
        .size:           2
        .value_kind:     hidden_group_size_x
      - .offset:         150
        .size:           2
        .value_kind:     hidden_group_size_y
      - .offset:         152
        .size:           2
        .value_kind:     hidden_group_size_z
      - .offset:         154
        .size:           2
        .value_kind:     hidden_remainder_x
      - .offset:         156
        .size:           2
        .value_kind:     hidden_remainder_y
      - .offset:         158
        .size:           2
        .value_kind:     hidden_remainder_z
      - .offset:         176
        .size:           8
        .value_kind:     hidden_global_offset_x
      - .offset:         184
        .size:           8
        .value_kind:     hidden_global_offset_y
      - .offset:         192
        .size:           8
        .value_kind:     hidden_global_offset_z
      - .offset:         200
        .size:           2
        .value_kind:     hidden_grid_dims
    .group_segment_fixed_size: 640
    .kernarg_segment_align: 8
    .kernarg_segment_size: 392
    .language:       OpenCL C
    .language_version:
      - 2
      - 0
    .max_flat_workgroup_size: 64
    .name:           _ZN9rocsparseL29bsrmmnn_small_blockdim_kernelILj64ELj8ELj2EliDF16_DF16_ffEEv20rocsparse_direction_T3_S2_llNS_24const_host_device_scalarIT7_EEPKT2_PKS2_PKT4_PKT5_llS5_PT6_ll16rocsparse_order_21rocsparse_index_base_b
    .private_segment_fixed_size: 0
    .sgpr_count:     30
    .sgpr_spill_count: 0
    .symbol:         _ZN9rocsparseL29bsrmmnn_small_blockdim_kernelILj64ELj8ELj2EliDF16_DF16_ffEEv20rocsparse_direction_T3_S2_llNS_24const_host_device_scalarIT7_EEPKT2_PKS2_PKT4_PKT5_llS5_PT6_ll16rocsparse_order_21rocsparse_index_base_b.kd
    .uniform_work_group_size: 1
    .uses_dynamic_stack: false
    .vgpr_count:     48
    .vgpr_spill_count: 0
    .wavefront_size: 32
    .workgroup_processor_mode: 1
  - .args:
      - .offset:         0
        .size:           4
        .value_kind:     by_value
      - .offset:         8
        .size:           8
        .value_kind:     by_value
      - .offset:         16
        .size:           8
        .value_kind:     by_value
      - .offset:         24
        .size:           8
        .value_kind:     by_value
      - .offset:         32
        .size:           8
        .value_kind:     by_value
      - .offset:         40
        .size:           8
        .value_kind:     by_value
      - .actual_access:  read_only
        .address_space:  global
        .offset:         48
        .size:           8
        .value_kind:     global_buffer
      - .actual_access:  read_only
        .address_space:  global
        .offset:         56
        .size:           8
        .value_kind:     global_buffer
      - .actual_access:  read_only
        .address_space:  global
        .offset:         64
        .size:           8
        .value_kind:     global_buffer
      - .actual_access:  read_only
        .address_space:  global
        .offset:         72
        .size:           8
        .value_kind:     global_buffer
      - .offset:         80
        .size:           8
        .value_kind:     by_value
      - .offset:         88
        .size:           8
        .value_kind:     by_value
      - .offset:         96
        .size:           8
        .value_kind:     by_value
      - .address_space:  global
        .offset:         104
        .size:           8
        .value_kind:     global_buffer
      - .offset:         112
        .size:           8
        .value_kind:     by_value
      - .offset:         120
        .size:           8
        .value_kind:     by_value
      - .offset:         128
        .size:           4
        .value_kind:     by_value
      - .offset:         132
        .size:           4
        .value_kind:     by_value
      - .offset:         136
        .size:           1
        .value_kind:     by_value
      - .offset:         144
        .size:           4
        .value_kind:     hidden_block_count_x
      - .offset:         148
        .size:           4
        .value_kind:     hidden_block_count_y
      - .offset:         152
        .size:           4
        .value_kind:     hidden_block_count_z
      - .offset:         156
        .size:           2
        .value_kind:     hidden_group_size_x
      - .offset:         158
        .size:           2
        .value_kind:     hidden_group_size_y
      - .offset:         160
        .size:           2
        .value_kind:     hidden_group_size_z
      - .offset:         162
        .size:           2
        .value_kind:     hidden_remainder_x
      - .offset:         164
        .size:           2
        .value_kind:     hidden_remainder_y
      - .offset:         166
        .size:           2
        .value_kind:     hidden_remainder_z
      - .offset:         184
        .size:           8
        .value_kind:     hidden_global_offset_x
      - .offset:         192
        .size:           8
        .value_kind:     hidden_global_offset_y
      - .offset:         200
        .size:           8
        .value_kind:     hidden_global_offset_z
      - .offset:         208
        .size:           2
        .value_kind:     hidden_grid_dims
    .group_segment_fixed_size: 896
    .kernarg_segment_align: 8
    .kernarg_segment_size: 400
    .language:       OpenCL C
    .language_version:
      - 2
      - 0
    .max_flat_workgroup_size: 64
    .name:           _ZN9rocsparseL29bsrmmnn_small_blockdim_kernelILj64ELj8ELj2EllDF16_DF16_ffEEv20rocsparse_direction_T3_S2_llNS_24const_host_device_scalarIT7_EEPKT2_PKS2_PKT4_PKT5_llS5_PT6_ll16rocsparse_order_21rocsparse_index_base_b
    .private_segment_fixed_size: 0
    .sgpr_count:     30
    .sgpr_spill_count: 0
    .symbol:         _ZN9rocsparseL29bsrmmnn_small_blockdim_kernelILj64ELj8ELj2EllDF16_DF16_ffEEv20rocsparse_direction_T3_S2_llNS_24const_host_device_scalarIT7_EEPKT2_PKS2_PKT4_PKT5_llS5_PT6_ll16rocsparse_order_21rocsparse_index_base_b.kd
    .uniform_work_group_size: 1
    .uses_dynamic_stack: false
    .vgpr_count:     48
    .vgpr_spill_count: 0
    .wavefront_size: 32
    .workgroup_processor_mode: 1
  - .args:
      - .offset:         0
        .size:           4
        .value_kind:     by_value
      - .offset:         4
        .size:           4
        .value_kind:     by_value
      - .offset:         8
        .size:           4
        .value_kind:     by_value
      - .offset:         16
        .size:           8
        .value_kind:     by_value
      - .offset:         24
        .size:           8
        .value_kind:     by_value
      - .offset:         32
        .size:           8
        .value_kind:     by_value
      - .actual_access:  read_only
        .address_space:  global
        .offset:         40
        .size:           8
        .value_kind:     global_buffer
      - .actual_access:  read_only
        .address_space:  global
        .offset:         48
        .size:           8
        .value_kind:     global_buffer
      - .actual_access:  read_only
        .address_space:  global
        .offset:         56
        .size:           8
        .value_kind:     global_buffer
      - .actual_access:  read_only
        .address_space:  global
        .offset:         64
        .size:           8
        .value_kind:     global_buffer
      - .offset:         72
        .size:           8
        .value_kind:     by_value
      - .offset:         80
        .size:           8
        .value_kind:     by_value
      - .offset:         88
        .size:           8
        .value_kind:     by_value
      - .address_space:  global
        .offset:         96
        .size:           8
        .value_kind:     global_buffer
      - .offset:         104
        .size:           8
        .value_kind:     by_value
      - .offset:         112
        .size:           8
        .value_kind:     by_value
      - .offset:         120
        .size:           4
        .value_kind:     by_value
      - .offset:         124
        .size:           4
        .value_kind:     by_value
      - .offset:         128
        .size:           1
        .value_kind:     by_value
      - .offset:         136
        .size:           4
        .value_kind:     hidden_block_count_x
      - .offset:         140
        .size:           4
        .value_kind:     hidden_block_count_y
      - .offset:         144
        .size:           4
        .value_kind:     hidden_block_count_z
      - .offset:         148
        .size:           2
        .value_kind:     hidden_group_size_x
      - .offset:         150
        .size:           2
        .value_kind:     hidden_group_size_y
      - .offset:         152
        .size:           2
        .value_kind:     hidden_group_size_z
      - .offset:         154
        .size:           2
        .value_kind:     hidden_remainder_x
      - .offset:         156
        .size:           2
        .value_kind:     hidden_remainder_y
      - .offset:         158
        .size:           2
        .value_kind:     hidden_remainder_z
      - .offset:         176
        .size:           8
        .value_kind:     hidden_global_offset_x
      - .offset:         184
        .size:           8
        .value_kind:     hidden_global_offset_y
      - .offset:         192
        .size:           8
        .value_kind:     hidden_global_offset_z
      - .offset:         200
        .size:           2
        .value_kind:     hidden_grid_dims
    .group_segment_fixed_size: 448
    .kernarg_segment_align: 8
    .kernarg_segment_size: 392
    .language:       OpenCL C
    .language_version:
      - 2
      - 0
    .max_flat_workgroup_size: 64
    .name:           _ZN9rocsparseL29bsrmmnn_small_blockdim_kernelILj64ELj8ELj2EiiaaiiEEv20rocsparse_direction_T3_S2_llNS_24const_host_device_scalarIT7_EEPKT2_PKS2_PKT4_PKT5_llS5_PT6_ll16rocsparse_order_21rocsparse_index_base_b
    .private_segment_fixed_size: 0
    .sgpr_count:     30
    .sgpr_spill_count: 0
    .symbol:         _ZN9rocsparseL29bsrmmnn_small_blockdim_kernelILj64ELj8ELj2EiiaaiiEEv20rocsparse_direction_T3_S2_llNS_24const_host_device_scalarIT7_EEPKT2_PKS2_PKT4_PKT5_llS5_PT6_ll16rocsparse_order_21rocsparse_index_base_b.kd
    .uniform_work_group_size: 1
    .uses_dynamic_stack: false
    .vgpr_count:     40
    .vgpr_spill_count: 0
    .wavefront_size: 32
    .workgroup_processor_mode: 1
  - .args:
      - .offset:         0
        .size:           4
        .value_kind:     by_value
      - .offset:         4
        .size:           4
        .value_kind:     by_value
      - .offset:         8
        .size:           4
        .value_kind:     by_value
      - .offset:         16
        .size:           8
        .value_kind:     by_value
      - .offset:         24
        .size:           8
        .value_kind:     by_value
      - .offset:         32
        .size:           8
        .value_kind:     by_value
      - .actual_access:  read_only
        .address_space:  global
        .offset:         40
        .size:           8
        .value_kind:     global_buffer
      - .actual_access:  read_only
        .address_space:  global
        .offset:         48
        .size:           8
        .value_kind:     global_buffer
      - .actual_access:  read_only
        .address_space:  global
        .offset:         56
        .size:           8
        .value_kind:     global_buffer
      - .actual_access:  read_only
        .address_space:  global
        .offset:         64
        .size:           8
        .value_kind:     global_buffer
      - .offset:         72
        .size:           8
        .value_kind:     by_value
      - .offset:         80
        .size:           8
        .value_kind:     by_value
      - .offset:         88
        .size:           8
        .value_kind:     by_value
      - .address_space:  global
        .offset:         96
        .size:           8
        .value_kind:     global_buffer
      - .offset:         104
        .size:           8
        .value_kind:     by_value
      - .offset:         112
        .size:           8
        .value_kind:     by_value
      - .offset:         120
        .size:           4
        .value_kind:     by_value
      - .offset:         124
        .size:           4
        .value_kind:     by_value
      - .offset:         128
        .size:           1
        .value_kind:     by_value
      - .offset:         136
        .size:           4
        .value_kind:     hidden_block_count_x
      - .offset:         140
        .size:           4
        .value_kind:     hidden_block_count_y
      - .offset:         144
        .size:           4
        .value_kind:     hidden_block_count_z
      - .offset:         148
        .size:           2
        .value_kind:     hidden_group_size_x
      - .offset:         150
        .size:           2
        .value_kind:     hidden_group_size_y
      - .offset:         152
        .size:           2
        .value_kind:     hidden_group_size_z
      - .offset:         154
        .size:           2
        .value_kind:     hidden_remainder_x
      - .offset:         156
        .size:           2
        .value_kind:     hidden_remainder_y
      - .offset:         158
        .size:           2
        .value_kind:     hidden_remainder_z
      - .offset:         176
        .size:           8
        .value_kind:     hidden_global_offset_x
      - .offset:         184
        .size:           8
        .value_kind:     hidden_global_offset_y
      - .offset:         192
        .size:           8
        .value_kind:     hidden_global_offset_z
      - .offset:         200
        .size:           2
        .value_kind:     hidden_grid_dims
    .group_segment_fixed_size: 448
    .kernarg_segment_align: 8
    .kernarg_segment_size: 392
    .language:       OpenCL C
    .language_version:
      - 2
      - 0
    .max_flat_workgroup_size: 64
    .name:           _ZN9rocsparseL29bsrmmnn_small_blockdim_kernelILj64ELj8ELj2EliaaiiEEv20rocsparse_direction_T3_S2_llNS_24const_host_device_scalarIT7_EEPKT2_PKS2_PKT4_PKT5_llS5_PT6_ll16rocsparse_order_21rocsparse_index_base_b
    .private_segment_fixed_size: 0
    .sgpr_count:     30
    .sgpr_spill_count: 0
    .symbol:         _ZN9rocsparseL29bsrmmnn_small_blockdim_kernelILj64ELj8ELj2EliaaiiEEv20rocsparse_direction_T3_S2_llNS_24const_host_device_scalarIT7_EEPKT2_PKS2_PKT4_PKT5_llS5_PT6_ll16rocsparse_order_21rocsparse_index_base_b.kd
    .uniform_work_group_size: 1
    .uses_dynamic_stack: false
    .vgpr_count:     47
    .vgpr_spill_count: 0
    .wavefront_size: 32
    .workgroup_processor_mode: 1
  - .args:
      - .offset:         0
        .size:           4
        .value_kind:     by_value
      - .offset:         8
        .size:           8
        .value_kind:     by_value
      - .offset:         16
        .size:           8
        .value_kind:     by_value
      - .offset:         24
        .size:           8
        .value_kind:     by_value
      - .offset:         32
        .size:           8
        .value_kind:     by_value
      - .offset:         40
        .size:           8
        .value_kind:     by_value
      - .actual_access:  read_only
        .address_space:  global
        .offset:         48
        .size:           8
        .value_kind:     global_buffer
      - .actual_access:  read_only
        .address_space:  global
        .offset:         56
        .size:           8
        .value_kind:     global_buffer
      - .actual_access:  read_only
        .address_space:  global
        .offset:         64
        .size:           8
        .value_kind:     global_buffer
      - .actual_access:  read_only
        .address_space:  global
        .offset:         72
        .size:           8
        .value_kind:     global_buffer
      - .offset:         80
        .size:           8
        .value_kind:     by_value
      - .offset:         88
        .size:           8
        .value_kind:     by_value
      - .offset:         96
        .size:           8
        .value_kind:     by_value
      - .address_space:  global
        .offset:         104
        .size:           8
        .value_kind:     global_buffer
      - .offset:         112
        .size:           8
        .value_kind:     by_value
      - .offset:         120
        .size:           8
        .value_kind:     by_value
      - .offset:         128
        .size:           4
        .value_kind:     by_value
      - .offset:         132
        .size:           4
        .value_kind:     by_value
      - .offset:         136
        .size:           1
        .value_kind:     by_value
      - .offset:         144
        .size:           4
        .value_kind:     hidden_block_count_x
      - .offset:         148
        .size:           4
        .value_kind:     hidden_block_count_y
      - .offset:         152
        .size:           4
        .value_kind:     hidden_block_count_z
      - .offset:         156
        .size:           2
        .value_kind:     hidden_group_size_x
      - .offset:         158
        .size:           2
        .value_kind:     hidden_group_size_y
      - .offset:         160
        .size:           2
        .value_kind:     hidden_group_size_z
      - .offset:         162
        .size:           2
        .value_kind:     hidden_remainder_x
      - .offset:         164
        .size:           2
        .value_kind:     hidden_remainder_y
      - .offset:         166
        .size:           2
        .value_kind:     hidden_remainder_z
      - .offset:         184
        .size:           8
        .value_kind:     hidden_global_offset_x
      - .offset:         192
        .size:           8
        .value_kind:     hidden_global_offset_y
      - .offset:         200
        .size:           8
        .value_kind:     hidden_global_offset_z
      - .offset:         208
        .size:           2
        .value_kind:     hidden_grid_dims
    .group_segment_fixed_size: 704
    .kernarg_segment_align: 8
    .kernarg_segment_size: 400
    .language:       OpenCL C
    .language_version:
      - 2
      - 0
    .max_flat_workgroup_size: 64
    .name:           _ZN9rocsparseL29bsrmmnn_small_blockdim_kernelILj64ELj8ELj2EllaaiiEEv20rocsparse_direction_T3_S2_llNS_24const_host_device_scalarIT7_EEPKT2_PKS2_PKT4_PKT5_llS5_PT6_ll16rocsparse_order_21rocsparse_index_base_b
    .private_segment_fixed_size: 0
    .sgpr_count:     30
    .sgpr_spill_count: 0
    .symbol:         _ZN9rocsparseL29bsrmmnn_small_blockdim_kernelILj64ELj8ELj2EllaaiiEEv20rocsparse_direction_T3_S2_llNS_24const_host_device_scalarIT7_EEPKT2_PKS2_PKT4_PKT5_llS5_PT6_ll16rocsparse_order_21rocsparse_index_base_b.kd
    .uniform_work_group_size: 1
    .uses_dynamic_stack: false
    .vgpr_count:     47
    .vgpr_spill_count: 0
    .wavefront_size: 32
    .workgroup_processor_mode: 1
  - .args:
      - .offset:         0
        .size:           4
        .value_kind:     by_value
      - .offset:         4
        .size:           4
        .value_kind:     by_value
      - .offset:         8
        .size:           4
        .value_kind:     by_value
      - .offset:         16
        .size:           8
        .value_kind:     by_value
      - .offset:         24
        .size:           8
        .value_kind:     by_value
      - .offset:         32
        .size:           8
        .value_kind:     by_value
      - .actual_access:  read_only
        .address_space:  global
        .offset:         40
        .size:           8
        .value_kind:     global_buffer
      - .actual_access:  read_only
        .address_space:  global
        .offset:         48
        .size:           8
        .value_kind:     global_buffer
      - .actual_access:  read_only
        .address_space:  global
        .offset:         56
        .size:           8
        .value_kind:     global_buffer
      - .actual_access:  read_only
        .address_space:  global
        .offset:         64
        .size:           8
        .value_kind:     global_buffer
      - .offset:         72
        .size:           8
        .value_kind:     by_value
      - .offset:         80
        .size:           8
        .value_kind:     by_value
      - .offset:         88
        .size:           8
        .value_kind:     by_value
      - .address_space:  global
        .offset:         96
        .size:           8
        .value_kind:     global_buffer
      - .offset:         104
        .size:           8
        .value_kind:     by_value
      - .offset:         112
        .size:           8
        .value_kind:     by_value
      - .offset:         120
        .size:           4
        .value_kind:     by_value
      - .offset:         124
        .size:           4
        .value_kind:     by_value
      - .offset:         128
        .size:           1
        .value_kind:     by_value
      - .offset:         136
        .size:           4
        .value_kind:     hidden_block_count_x
      - .offset:         140
        .size:           4
        .value_kind:     hidden_block_count_y
      - .offset:         144
        .size:           4
        .value_kind:     hidden_block_count_z
      - .offset:         148
        .size:           2
        .value_kind:     hidden_group_size_x
      - .offset:         150
        .size:           2
        .value_kind:     hidden_group_size_y
      - .offset:         152
        .size:           2
        .value_kind:     hidden_group_size_z
      - .offset:         154
        .size:           2
        .value_kind:     hidden_remainder_x
      - .offset:         156
        .size:           2
        .value_kind:     hidden_remainder_y
      - .offset:         158
        .size:           2
        .value_kind:     hidden_remainder_z
      - .offset:         176
        .size:           8
        .value_kind:     hidden_global_offset_x
      - .offset:         184
        .size:           8
        .value_kind:     hidden_global_offset_y
      - .offset:         192
        .size:           8
        .value_kind:     hidden_global_offset_z
      - .offset:         200
        .size:           2
        .value_kind:     hidden_grid_dims
    .group_segment_fixed_size: 448
    .kernarg_segment_align: 8
    .kernarg_segment_size: 392
    .language:       OpenCL C
    .language_version:
      - 2
      - 0
    .max_flat_workgroup_size: 64
    .name:           _ZN9rocsparseL29bsrmmnn_small_blockdim_kernelILj64ELj8ELj2EiiaaffEEv20rocsparse_direction_T3_S2_llNS_24const_host_device_scalarIT7_EEPKT2_PKS2_PKT4_PKT5_llS5_PT6_ll16rocsparse_order_21rocsparse_index_base_b
    .private_segment_fixed_size: 0
    .sgpr_count:     30
    .sgpr_spill_count: 0
    .symbol:         _ZN9rocsparseL29bsrmmnn_small_blockdim_kernelILj64ELj8ELj2EiiaaffEEv20rocsparse_direction_T3_S2_llNS_24const_host_device_scalarIT7_EEPKT2_PKS2_PKT4_PKT5_llS5_PT6_ll16rocsparse_order_21rocsparse_index_base_b.kd
    .uniform_work_group_size: 1
    .uses_dynamic_stack: false
    .vgpr_count:     46
    .vgpr_spill_count: 0
    .wavefront_size: 32
    .workgroup_processor_mode: 1
  - .args:
      - .offset:         0
        .size:           4
        .value_kind:     by_value
      - .offset:         4
        .size:           4
        .value_kind:     by_value
      - .offset:         8
        .size:           4
        .value_kind:     by_value
      - .offset:         16
        .size:           8
        .value_kind:     by_value
      - .offset:         24
        .size:           8
        .value_kind:     by_value
      - .offset:         32
        .size:           8
        .value_kind:     by_value
      - .actual_access:  read_only
        .address_space:  global
        .offset:         40
        .size:           8
        .value_kind:     global_buffer
      - .actual_access:  read_only
        .address_space:  global
        .offset:         48
        .size:           8
        .value_kind:     global_buffer
      - .actual_access:  read_only
        .address_space:  global
        .offset:         56
        .size:           8
        .value_kind:     global_buffer
      - .actual_access:  read_only
        .address_space:  global
        .offset:         64
        .size:           8
        .value_kind:     global_buffer
      - .offset:         72
        .size:           8
        .value_kind:     by_value
      - .offset:         80
        .size:           8
        .value_kind:     by_value
      - .offset:         88
        .size:           8
        .value_kind:     by_value
      - .address_space:  global
        .offset:         96
        .size:           8
        .value_kind:     global_buffer
      - .offset:         104
        .size:           8
        .value_kind:     by_value
      - .offset:         112
        .size:           8
        .value_kind:     by_value
      - .offset:         120
        .size:           4
        .value_kind:     by_value
      - .offset:         124
        .size:           4
        .value_kind:     by_value
      - .offset:         128
        .size:           1
        .value_kind:     by_value
      - .offset:         136
        .size:           4
        .value_kind:     hidden_block_count_x
      - .offset:         140
        .size:           4
        .value_kind:     hidden_block_count_y
      - .offset:         144
        .size:           4
        .value_kind:     hidden_block_count_z
      - .offset:         148
        .size:           2
        .value_kind:     hidden_group_size_x
      - .offset:         150
        .size:           2
        .value_kind:     hidden_group_size_y
      - .offset:         152
        .size:           2
        .value_kind:     hidden_group_size_z
      - .offset:         154
        .size:           2
        .value_kind:     hidden_remainder_x
      - .offset:         156
        .size:           2
        .value_kind:     hidden_remainder_y
      - .offset:         158
        .size:           2
        .value_kind:     hidden_remainder_z
      - .offset:         176
        .size:           8
        .value_kind:     hidden_global_offset_x
      - .offset:         184
        .size:           8
        .value_kind:     hidden_global_offset_y
      - .offset:         192
        .size:           8
        .value_kind:     hidden_global_offset_z
      - .offset:         200
        .size:           2
        .value_kind:     hidden_grid_dims
    .group_segment_fixed_size: 448
    .kernarg_segment_align: 8
    .kernarg_segment_size: 392
    .language:       OpenCL C
    .language_version:
      - 2
      - 0
    .max_flat_workgroup_size: 64
    .name:           _ZN9rocsparseL29bsrmmnn_small_blockdim_kernelILj64ELj8ELj2EliaaffEEv20rocsparse_direction_T3_S2_llNS_24const_host_device_scalarIT7_EEPKT2_PKS2_PKT4_PKT5_llS5_PT6_ll16rocsparse_order_21rocsparse_index_base_b
    .private_segment_fixed_size: 0
    .sgpr_count:     30
    .sgpr_spill_count: 0
    .symbol:         _ZN9rocsparseL29bsrmmnn_small_blockdim_kernelILj64ELj8ELj2EliaaffEEv20rocsparse_direction_T3_S2_llNS_24const_host_device_scalarIT7_EEPKT2_PKS2_PKT4_PKT5_llS5_PT6_ll16rocsparse_order_21rocsparse_index_base_b.kd
    .uniform_work_group_size: 1
    .uses_dynamic_stack: false
    .vgpr_count:     53
    .vgpr_spill_count: 0
    .wavefront_size: 32
    .workgroup_processor_mode: 1
  - .args:
      - .offset:         0
        .size:           4
        .value_kind:     by_value
      - .offset:         8
        .size:           8
        .value_kind:     by_value
      - .offset:         16
        .size:           8
        .value_kind:     by_value
      - .offset:         24
        .size:           8
        .value_kind:     by_value
      - .offset:         32
        .size:           8
        .value_kind:     by_value
      - .offset:         40
        .size:           8
        .value_kind:     by_value
      - .actual_access:  read_only
        .address_space:  global
        .offset:         48
        .size:           8
        .value_kind:     global_buffer
      - .actual_access:  read_only
        .address_space:  global
        .offset:         56
        .size:           8
        .value_kind:     global_buffer
      - .actual_access:  read_only
        .address_space:  global
        .offset:         64
        .size:           8
        .value_kind:     global_buffer
      - .actual_access:  read_only
        .address_space:  global
        .offset:         72
        .size:           8
        .value_kind:     global_buffer
      - .offset:         80
        .size:           8
        .value_kind:     by_value
      - .offset:         88
        .size:           8
        .value_kind:     by_value
      - .offset:         96
        .size:           8
        .value_kind:     by_value
      - .address_space:  global
        .offset:         104
        .size:           8
        .value_kind:     global_buffer
      - .offset:         112
        .size:           8
        .value_kind:     by_value
      - .offset:         120
        .size:           8
        .value_kind:     by_value
      - .offset:         128
        .size:           4
        .value_kind:     by_value
      - .offset:         132
        .size:           4
        .value_kind:     by_value
      - .offset:         136
        .size:           1
        .value_kind:     by_value
      - .offset:         144
        .size:           4
        .value_kind:     hidden_block_count_x
      - .offset:         148
        .size:           4
        .value_kind:     hidden_block_count_y
      - .offset:         152
        .size:           4
        .value_kind:     hidden_block_count_z
      - .offset:         156
        .size:           2
        .value_kind:     hidden_group_size_x
      - .offset:         158
        .size:           2
        .value_kind:     hidden_group_size_y
      - .offset:         160
        .size:           2
        .value_kind:     hidden_group_size_z
      - .offset:         162
        .size:           2
        .value_kind:     hidden_remainder_x
      - .offset:         164
        .size:           2
        .value_kind:     hidden_remainder_y
      - .offset:         166
        .size:           2
        .value_kind:     hidden_remainder_z
      - .offset:         184
        .size:           8
        .value_kind:     hidden_global_offset_x
      - .offset:         192
        .size:           8
        .value_kind:     hidden_global_offset_y
      - .offset:         200
        .size:           8
        .value_kind:     hidden_global_offset_z
      - .offset:         208
        .size:           2
        .value_kind:     hidden_grid_dims
    .group_segment_fixed_size: 704
    .kernarg_segment_align: 8
    .kernarg_segment_size: 400
    .language:       OpenCL C
    .language_version:
      - 2
      - 0
    .max_flat_workgroup_size: 64
    .name:           _ZN9rocsparseL29bsrmmnn_small_blockdim_kernelILj64ELj8ELj2EllaaffEEv20rocsparse_direction_T3_S2_llNS_24const_host_device_scalarIT7_EEPKT2_PKS2_PKT4_PKT5_llS5_PT6_ll16rocsparse_order_21rocsparse_index_base_b
    .private_segment_fixed_size: 0
    .sgpr_count:     30
    .sgpr_spill_count: 0
    .symbol:         _ZN9rocsparseL29bsrmmnn_small_blockdim_kernelILj64ELj8ELj2EllaaffEEv20rocsparse_direction_T3_S2_llNS_24const_host_device_scalarIT7_EEPKT2_PKS2_PKT4_PKT5_llS5_PT6_ll16rocsparse_order_21rocsparse_index_base_b.kd
    .uniform_work_group_size: 1
    .uses_dynamic_stack: false
    .vgpr_count:     53
    .vgpr_spill_count: 0
    .wavefront_size: 32
    .workgroup_processor_mode: 1
  - .args:
      - .offset:         0
        .size:           4
        .value_kind:     by_value
      - .offset:         4
        .size:           4
        .value_kind:     by_value
      - .offset:         8
        .size:           4
        .value_kind:     by_value
      - .offset:         16
        .size:           8
        .value_kind:     by_value
      - .offset:         24
        .size:           8
        .value_kind:     by_value
      - .offset:         32
        .size:           8
        .value_kind:     by_value
      - .actual_access:  read_only
        .address_space:  global
        .offset:         40
        .size:           8
        .value_kind:     global_buffer
      - .actual_access:  read_only
        .address_space:  global
        .offset:         48
        .size:           8
        .value_kind:     global_buffer
      - .actual_access:  read_only
        .address_space:  global
        .offset:         56
        .size:           8
        .value_kind:     global_buffer
      - .actual_access:  read_only
        .address_space:  global
        .offset:         64
        .size:           8
        .value_kind:     global_buffer
      - .offset:         72
        .size:           8
        .value_kind:     by_value
      - .offset:         80
        .size:           8
        .value_kind:     by_value
      - .offset:         88
        .size:           8
        .value_kind:     by_value
      - .address_space:  global
        .offset:         96
        .size:           8
        .value_kind:     global_buffer
      - .offset:         104
        .size:           8
        .value_kind:     by_value
      - .offset:         112
        .size:           8
        .value_kind:     by_value
      - .offset:         120
        .size:           4
        .value_kind:     by_value
      - .offset:         124
        .size:           4
        .value_kind:     by_value
      - .offset:         128
        .size:           1
        .value_kind:     by_value
      - .offset:         136
        .size:           4
        .value_kind:     hidden_block_count_x
      - .offset:         140
        .size:           4
        .value_kind:     hidden_block_count_y
      - .offset:         144
        .size:           4
        .value_kind:     hidden_block_count_z
      - .offset:         148
        .size:           2
        .value_kind:     hidden_group_size_x
      - .offset:         150
        .size:           2
        .value_kind:     hidden_group_size_y
      - .offset:         152
        .size:           2
        .value_kind:     hidden_group_size_z
      - .offset:         154
        .size:           2
        .value_kind:     hidden_remainder_x
      - .offset:         156
        .size:           2
        .value_kind:     hidden_remainder_y
      - .offset:         158
        .size:           2
        .value_kind:     hidden_remainder_z
      - .offset:         176
        .size:           8
        .value_kind:     hidden_global_offset_x
      - .offset:         184
        .size:           8
        .value_kind:     hidden_global_offset_y
      - .offset:         192
        .size:           8
        .value_kind:     hidden_global_offset_z
      - .offset:         200
        .size:           2
        .value_kind:     hidden_grid_dims
    .group_segment_fixed_size: 1024
    .kernarg_segment_align: 8
    .kernarg_segment_size: 392
    .language:       OpenCL C
    .language_version:
      - 2
      - 0
    .max_flat_workgroup_size: 64
    .name:           _ZN9rocsparseL29bsrmmnt_small_blockdim_kernelILj64ELj8ELj2EiiffffEEv20rocsparse_direction_T3_S2_llNS_24const_host_device_scalarIT7_EEPKT2_PKS2_PKT4_PKT5_llS5_PT6_ll16rocsparse_order_21rocsparse_index_base_b
    .private_segment_fixed_size: 0
    .sgpr_count:     28
    .sgpr_spill_count: 0
    .symbol:         _ZN9rocsparseL29bsrmmnt_small_blockdim_kernelILj64ELj8ELj2EiiffffEEv20rocsparse_direction_T3_S2_llNS_24const_host_device_scalarIT7_EEPKT2_PKS2_PKT4_PKT5_llS5_PT6_ll16rocsparse_order_21rocsparse_index_base_b.kd
    .uniform_work_group_size: 1
    .uses_dynamic_stack: false
    .vgpr_count:     37
    .vgpr_spill_count: 0
    .wavefront_size: 32
    .workgroup_processor_mode: 1
  - .args:
      - .offset:         0
        .size:           4
        .value_kind:     by_value
      - .offset:         4
        .size:           4
        .value_kind:     by_value
      - .offset:         8
        .size:           4
        .value_kind:     by_value
      - .offset:         16
        .size:           8
        .value_kind:     by_value
      - .offset:         24
        .size:           8
        .value_kind:     by_value
      - .offset:         32
        .size:           8
        .value_kind:     by_value
      - .actual_access:  read_only
        .address_space:  global
        .offset:         40
        .size:           8
        .value_kind:     global_buffer
      - .actual_access:  read_only
        .address_space:  global
        .offset:         48
        .size:           8
        .value_kind:     global_buffer
      - .actual_access:  read_only
        .address_space:  global
        .offset:         56
        .size:           8
        .value_kind:     global_buffer
      - .actual_access:  read_only
        .address_space:  global
        .offset:         64
        .size:           8
        .value_kind:     global_buffer
      - .offset:         72
        .size:           8
        .value_kind:     by_value
      - .offset:         80
        .size:           8
        .value_kind:     by_value
      - .offset:         88
        .size:           8
        .value_kind:     by_value
      - .address_space:  global
        .offset:         96
        .size:           8
        .value_kind:     global_buffer
      - .offset:         104
        .size:           8
        .value_kind:     by_value
      - .offset:         112
        .size:           8
        .value_kind:     by_value
      - .offset:         120
        .size:           4
        .value_kind:     by_value
      - .offset:         124
        .size:           4
        .value_kind:     by_value
      - .offset:         128
        .size:           1
        .value_kind:     by_value
      - .offset:         136
        .size:           4
        .value_kind:     hidden_block_count_x
      - .offset:         140
        .size:           4
        .value_kind:     hidden_block_count_y
      - .offset:         144
        .size:           4
        .value_kind:     hidden_block_count_z
      - .offset:         148
        .size:           2
        .value_kind:     hidden_group_size_x
      - .offset:         150
        .size:           2
        .value_kind:     hidden_group_size_y
      - .offset:         152
        .size:           2
        .value_kind:     hidden_group_size_z
      - .offset:         154
        .size:           2
        .value_kind:     hidden_remainder_x
      - .offset:         156
        .size:           2
        .value_kind:     hidden_remainder_y
      - .offset:         158
        .size:           2
        .value_kind:     hidden_remainder_z
      - .offset:         176
        .size:           8
        .value_kind:     hidden_global_offset_x
      - .offset:         184
        .size:           8
        .value_kind:     hidden_global_offset_y
      - .offset:         192
        .size:           8
        .value_kind:     hidden_global_offset_z
      - .offset:         200
        .size:           2
        .value_kind:     hidden_grid_dims
    .group_segment_fixed_size: 1024
    .kernarg_segment_align: 8
    .kernarg_segment_size: 392
    .language:       OpenCL C
    .language_version:
      - 2
      - 0
    .max_flat_workgroup_size: 64
    .name:           _ZN9rocsparseL29bsrmmnt_small_blockdim_kernelILj64ELj16ELj2EiiffffEEv20rocsparse_direction_T3_S2_llNS_24const_host_device_scalarIT7_EEPKT2_PKS2_PKT4_PKT5_llS5_PT6_ll16rocsparse_order_21rocsparse_index_base_b
    .private_segment_fixed_size: 0
    .sgpr_count:     28
    .sgpr_spill_count: 0
    .symbol:         _ZN9rocsparseL29bsrmmnt_small_blockdim_kernelILj64ELj16ELj2EiiffffEEv20rocsparse_direction_T3_S2_llNS_24const_host_device_scalarIT7_EEPKT2_PKS2_PKT4_PKT5_llS5_PT6_ll16rocsparse_order_21rocsparse_index_base_b.kd
    .uniform_work_group_size: 1
    .uses_dynamic_stack: false
    .vgpr_count:     37
    .vgpr_spill_count: 0
    .wavefront_size: 32
    .workgroup_processor_mode: 1
  - .args:
      - .offset:         0
        .size:           4
        .value_kind:     by_value
      - .offset:         4
        .size:           4
        .value_kind:     by_value
      - .offset:         8
        .size:           4
        .value_kind:     by_value
      - .offset:         16
        .size:           8
        .value_kind:     by_value
      - .offset:         24
        .size:           8
        .value_kind:     by_value
      - .offset:         32
        .size:           8
        .value_kind:     by_value
      - .actual_access:  read_only
        .address_space:  global
        .offset:         40
        .size:           8
        .value_kind:     global_buffer
      - .actual_access:  read_only
        .address_space:  global
        .offset:         48
        .size:           8
        .value_kind:     global_buffer
      - .actual_access:  read_only
        .address_space:  global
        .offset:         56
        .size:           8
        .value_kind:     global_buffer
      - .actual_access:  read_only
        .address_space:  global
        .offset:         64
        .size:           8
        .value_kind:     global_buffer
      - .offset:         72
        .size:           8
        .value_kind:     by_value
      - .offset:         80
        .size:           8
        .value_kind:     by_value
      - .offset:         88
        .size:           8
        .value_kind:     by_value
      - .address_space:  global
        .offset:         96
        .size:           8
        .value_kind:     global_buffer
      - .offset:         104
        .size:           8
        .value_kind:     by_value
      - .offset:         112
        .size:           8
        .value_kind:     by_value
      - .offset:         120
        .size:           4
        .value_kind:     by_value
      - .offset:         124
        .size:           4
        .value_kind:     by_value
      - .offset:         128
        .size:           1
        .value_kind:     by_value
      - .offset:         136
        .size:           4
        .value_kind:     hidden_block_count_x
      - .offset:         140
        .size:           4
        .value_kind:     hidden_block_count_y
      - .offset:         144
        .size:           4
        .value_kind:     hidden_block_count_z
      - .offset:         148
        .size:           2
        .value_kind:     hidden_group_size_x
      - .offset:         150
        .size:           2
        .value_kind:     hidden_group_size_y
      - .offset:         152
        .size:           2
        .value_kind:     hidden_group_size_z
      - .offset:         154
        .size:           2
        .value_kind:     hidden_remainder_x
      - .offset:         156
        .size:           2
        .value_kind:     hidden_remainder_y
      - .offset:         158
        .size:           2
        .value_kind:     hidden_remainder_z
      - .offset:         176
        .size:           8
        .value_kind:     hidden_global_offset_x
      - .offset:         184
        .size:           8
        .value_kind:     hidden_global_offset_y
      - .offset:         192
        .size:           8
        .value_kind:     hidden_global_offset_z
      - .offset:         200
        .size:           2
        .value_kind:     hidden_grid_dims
    .group_segment_fixed_size: 1024
    .kernarg_segment_align: 8
    .kernarg_segment_size: 392
    .language:       OpenCL C
    .language_version:
      - 2
      - 0
    .max_flat_workgroup_size: 64
    .name:           _ZN9rocsparseL29bsrmmnt_small_blockdim_kernelILj64ELj32ELj2EiiffffEEv20rocsparse_direction_T3_S2_llNS_24const_host_device_scalarIT7_EEPKT2_PKS2_PKT4_PKT5_llS5_PT6_ll16rocsparse_order_21rocsparse_index_base_b
    .private_segment_fixed_size: 0
    .sgpr_count:     28
    .sgpr_spill_count: 0
    .symbol:         _ZN9rocsparseL29bsrmmnt_small_blockdim_kernelILj64ELj32ELj2EiiffffEEv20rocsparse_direction_T3_S2_llNS_24const_host_device_scalarIT7_EEPKT2_PKS2_PKT4_PKT5_llS5_PT6_ll16rocsparse_order_21rocsparse_index_base_b.kd
    .uniform_work_group_size: 1
    .uses_dynamic_stack: false
    .vgpr_count:     37
    .vgpr_spill_count: 0
    .wavefront_size: 32
    .workgroup_processor_mode: 1
  - .args:
      - .offset:         0
        .size:           4
        .value_kind:     by_value
      - .offset:         4
        .size:           4
        .value_kind:     by_value
      - .offset:         8
        .size:           4
        .value_kind:     by_value
      - .offset:         16
        .size:           8
        .value_kind:     by_value
      - .offset:         24
        .size:           8
        .value_kind:     by_value
      - .offset:         32
        .size:           8
        .value_kind:     by_value
      - .actual_access:  read_only
        .address_space:  global
        .offset:         40
        .size:           8
        .value_kind:     global_buffer
      - .actual_access:  read_only
        .address_space:  global
        .offset:         48
        .size:           8
        .value_kind:     global_buffer
      - .actual_access:  read_only
        .address_space:  global
        .offset:         56
        .size:           8
        .value_kind:     global_buffer
      - .actual_access:  read_only
        .address_space:  global
        .offset:         64
        .size:           8
        .value_kind:     global_buffer
      - .offset:         72
        .size:           8
        .value_kind:     by_value
      - .offset:         80
        .size:           8
        .value_kind:     by_value
      - .offset:         88
        .size:           8
        .value_kind:     by_value
      - .address_space:  global
        .offset:         96
        .size:           8
        .value_kind:     global_buffer
      - .offset:         104
        .size:           8
        .value_kind:     by_value
      - .offset:         112
        .size:           8
        .value_kind:     by_value
      - .offset:         120
        .size:           4
        .value_kind:     by_value
      - .offset:         124
        .size:           4
        .value_kind:     by_value
      - .offset:         128
        .size:           1
        .value_kind:     by_value
      - .offset:         136
        .size:           4
        .value_kind:     hidden_block_count_x
      - .offset:         140
        .size:           4
        .value_kind:     hidden_block_count_y
      - .offset:         144
        .size:           4
        .value_kind:     hidden_block_count_z
      - .offset:         148
        .size:           2
        .value_kind:     hidden_group_size_x
      - .offset:         150
        .size:           2
        .value_kind:     hidden_group_size_y
      - .offset:         152
        .size:           2
        .value_kind:     hidden_group_size_z
      - .offset:         154
        .size:           2
        .value_kind:     hidden_remainder_x
      - .offset:         156
        .size:           2
        .value_kind:     hidden_remainder_y
      - .offset:         158
        .size:           2
        .value_kind:     hidden_remainder_z
      - .offset:         176
        .size:           8
        .value_kind:     hidden_global_offset_x
      - .offset:         184
        .size:           8
        .value_kind:     hidden_global_offset_y
      - .offset:         192
        .size:           8
        .value_kind:     hidden_global_offset_z
      - .offset:         200
        .size:           2
        .value_kind:     hidden_grid_dims
    .group_segment_fixed_size: 1024
    .kernarg_segment_align: 8
    .kernarg_segment_size: 392
    .language:       OpenCL C
    .language_version:
      - 2
      - 0
    .max_flat_workgroup_size: 64
    .name:           _ZN9rocsparseL29bsrmmnt_small_blockdim_kernelILj64ELj64ELj2EiiffffEEv20rocsparse_direction_T3_S2_llNS_24const_host_device_scalarIT7_EEPKT2_PKS2_PKT4_PKT5_llS5_PT6_ll16rocsparse_order_21rocsparse_index_base_b
    .private_segment_fixed_size: 0
    .sgpr_count:     28
    .sgpr_spill_count: 0
    .symbol:         _ZN9rocsparseL29bsrmmnt_small_blockdim_kernelILj64ELj64ELj2EiiffffEEv20rocsparse_direction_T3_S2_llNS_24const_host_device_scalarIT7_EEPKT2_PKS2_PKT4_PKT5_llS5_PT6_ll16rocsparse_order_21rocsparse_index_base_b.kd
    .uniform_work_group_size: 1
    .uses_dynamic_stack: false
    .vgpr_count:     35
    .vgpr_spill_count: 0
    .wavefront_size: 32
    .workgroup_processor_mode: 1
  - .args:
      - .offset:         0
        .size:           4
        .value_kind:     by_value
      - .offset:         4
        .size:           4
        .value_kind:     by_value
      - .offset:         8
        .size:           4
        .value_kind:     by_value
      - .offset:         16
        .size:           8
        .value_kind:     by_value
      - .offset:         24
        .size:           8
        .value_kind:     by_value
      - .offset:         32
        .size:           8
        .value_kind:     by_value
      - .actual_access:  read_only
        .address_space:  global
        .offset:         40
        .size:           8
        .value_kind:     global_buffer
      - .actual_access:  read_only
        .address_space:  global
        .offset:         48
        .size:           8
        .value_kind:     global_buffer
      - .actual_access:  read_only
        .address_space:  global
        .offset:         56
        .size:           8
        .value_kind:     global_buffer
      - .actual_access:  read_only
        .address_space:  global
        .offset:         64
        .size:           8
        .value_kind:     global_buffer
      - .offset:         72
        .size:           8
        .value_kind:     by_value
      - .offset:         80
        .size:           8
        .value_kind:     by_value
      - .offset:         88
        .size:           8
        .value_kind:     by_value
      - .address_space:  global
        .offset:         96
        .size:           8
        .value_kind:     global_buffer
      - .offset:         104
        .size:           8
        .value_kind:     by_value
      - .offset:         112
        .size:           8
        .value_kind:     by_value
      - .offset:         120
        .size:           4
        .value_kind:     by_value
      - .offset:         124
        .size:           4
        .value_kind:     by_value
      - .offset:         128
        .size:           1
        .value_kind:     by_value
      - .offset:         136
        .size:           4
        .value_kind:     hidden_block_count_x
      - .offset:         140
        .size:           4
        .value_kind:     hidden_block_count_y
      - .offset:         144
        .size:           4
        .value_kind:     hidden_block_count_z
      - .offset:         148
        .size:           2
        .value_kind:     hidden_group_size_x
      - .offset:         150
        .size:           2
        .value_kind:     hidden_group_size_y
      - .offset:         152
        .size:           2
        .value_kind:     hidden_group_size_z
      - .offset:         154
        .size:           2
        .value_kind:     hidden_remainder_x
      - .offset:         156
        .size:           2
        .value_kind:     hidden_remainder_y
      - .offset:         158
        .size:           2
        .value_kind:     hidden_remainder_z
      - .offset:         176
        .size:           8
        .value_kind:     hidden_global_offset_x
      - .offset:         184
        .size:           8
        .value_kind:     hidden_global_offset_y
      - .offset:         192
        .size:           8
        .value_kind:     hidden_global_offset_z
      - .offset:         200
        .size:           2
        .value_kind:     hidden_grid_dims
    .group_segment_fixed_size: 1024
    .kernarg_segment_align: 8
    .kernarg_segment_size: 392
    .language:       OpenCL C
    .language_version:
      - 2
      - 0
    .max_flat_workgroup_size: 64
    .name:           _ZN9rocsparseL29bsrmmnt_small_blockdim_kernelILj64ELj8ELj2EliffffEEv20rocsparse_direction_T3_S2_llNS_24const_host_device_scalarIT7_EEPKT2_PKS2_PKT4_PKT5_llS5_PT6_ll16rocsparse_order_21rocsparse_index_base_b
    .private_segment_fixed_size: 0
    .sgpr_count:     28
    .sgpr_spill_count: 0
    .symbol:         _ZN9rocsparseL29bsrmmnt_small_blockdim_kernelILj64ELj8ELj2EliffffEEv20rocsparse_direction_T3_S2_llNS_24const_host_device_scalarIT7_EEPKT2_PKS2_PKT4_PKT5_llS5_PT6_ll16rocsparse_order_21rocsparse_index_base_b.kd
    .uniform_work_group_size: 1
    .uses_dynamic_stack: false
    .vgpr_count:     39
    .vgpr_spill_count: 0
    .wavefront_size: 32
    .workgroup_processor_mode: 1
  - .args:
      - .offset:         0
        .size:           4
        .value_kind:     by_value
      - .offset:         4
        .size:           4
        .value_kind:     by_value
      - .offset:         8
        .size:           4
        .value_kind:     by_value
      - .offset:         16
        .size:           8
        .value_kind:     by_value
      - .offset:         24
        .size:           8
        .value_kind:     by_value
      - .offset:         32
        .size:           8
        .value_kind:     by_value
      - .actual_access:  read_only
        .address_space:  global
        .offset:         40
        .size:           8
        .value_kind:     global_buffer
      - .actual_access:  read_only
        .address_space:  global
        .offset:         48
        .size:           8
        .value_kind:     global_buffer
      - .actual_access:  read_only
        .address_space:  global
        .offset:         56
        .size:           8
        .value_kind:     global_buffer
      - .actual_access:  read_only
        .address_space:  global
        .offset:         64
        .size:           8
        .value_kind:     global_buffer
      - .offset:         72
        .size:           8
        .value_kind:     by_value
      - .offset:         80
        .size:           8
        .value_kind:     by_value
      - .offset:         88
        .size:           8
        .value_kind:     by_value
      - .address_space:  global
        .offset:         96
        .size:           8
        .value_kind:     global_buffer
      - .offset:         104
        .size:           8
        .value_kind:     by_value
      - .offset:         112
        .size:           8
        .value_kind:     by_value
      - .offset:         120
        .size:           4
        .value_kind:     by_value
      - .offset:         124
        .size:           4
        .value_kind:     by_value
      - .offset:         128
        .size:           1
        .value_kind:     by_value
      - .offset:         136
        .size:           4
        .value_kind:     hidden_block_count_x
      - .offset:         140
        .size:           4
        .value_kind:     hidden_block_count_y
      - .offset:         144
        .size:           4
        .value_kind:     hidden_block_count_z
      - .offset:         148
        .size:           2
        .value_kind:     hidden_group_size_x
      - .offset:         150
        .size:           2
        .value_kind:     hidden_group_size_y
      - .offset:         152
        .size:           2
        .value_kind:     hidden_group_size_z
      - .offset:         154
        .size:           2
        .value_kind:     hidden_remainder_x
      - .offset:         156
        .size:           2
        .value_kind:     hidden_remainder_y
      - .offset:         158
        .size:           2
        .value_kind:     hidden_remainder_z
      - .offset:         176
        .size:           8
        .value_kind:     hidden_global_offset_x
      - .offset:         184
        .size:           8
        .value_kind:     hidden_global_offset_y
      - .offset:         192
        .size:           8
        .value_kind:     hidden_global_offset_z
      - .offset:         200
        .size:           2
        .value_kind:     hidden_grid_dims
    .group_segment_fixed_size: 1024
    .kernarg_segment_align: 8
    .kernarg_segment_size: 392
    .language:       OpenCL C
    .language_version:
      - 2
      - 0
    .max_flat_workgroup_size: 64
    .name:           _ZN9rocsparseL29bsrmmnt_small_blockdim_kernelILj64ELj16ELj2EliffffEEv20rocsparse_direction_T3_S2_llNS_24const_host_device_scalarIT7_EEPKT2_PKS2_PKT4_PKT5_llS5_PT6_ll16rocsparse_order_21rocsparse_index_base_b
    .private_segment_fixed_size: 0
    .sgpr_count:     28
    .sgpr_spill_count: 0
    .symbol:         _ZN9rocsparseL29bsrmmnt_small_blockdim_kernelILj64ELj16ELj2EliffffEEv20rocsparse_direction_T3_S2_llNS_24const_host_device_scalarIT7_EEPKT2_PKS2_PKT4_PKT5_llS5_PT6_ll16rocsparse_order_21rocsparse_index_base_b.kd
    .uniform_work_group_size: 1
    .uses_dynamic_stack: false
    .vgpr_count:     39
    .vgpr_spill_count: 0
    .wavefront_size: 32
    .workgroup_processor_mode: 1
  - .args:
      - .offset:         0
        .size:           4
        .value_kind:     by_value
      - .offset:         4
        .size:           4
        .value_kind:     by_value
      - .offset:         8
        .size:           4
        .value_kind:     by_value
      - .offset:         16
        .size:           8
        .value_kind:     by_value
      - .offset:         24
        .size:           8
        .value_kind:     by_value
      - .offset:         32
        .size:           8
        .value_kind:     by_value
      - .actual_access:  read_only
        .address_space:  global
        .offset:         40
        .size:           8
        .value_kind:     global_buffer
      - .actual_access:  read_only
        .address_space:  global
        .offset:         48
        .size:           8
        .value_kind:     global_buffer
      - .actual_access:  read_only
        .address_space:  global
        .offset:         56
        .size:           8
        .value_kind:     global_buffer
      - .actual_access:  read_only
        .address_space:  global
        .offset:         64
        .size:           8
        .value_kind:     global_buffer
      - .offset:         72
        .size:           8
        .value_kind:     by_value
      - .offset:         80
        .size:           8
        .value_kind:     by_value
      - .offset:         88
        .size:           8
        .value_kind:     by_value
      - .address_space:  global
        .offset:         96
        .size:           8
        .value_kind:     global_buffer
      - .offset:         104
        .size:           8
        .value_kind:     by_value
      - .offset:         112
        .size:           8
        .value_kind:     by_value
      - .offset:         120
        .size:           4
        .value_kind:     by_value
      - .offset:         124
        .size:           4
        .value_kind:     by_value
      - .offset:         128
        .size:           1
        .value_kind:     by_value
      - .offset:         136
        .size:           4
        .value_kind:     hidden_block_count_x
      - .offset:         140
        .size:           4
        .value_kind:     hidden_block_count_y
      - .offset:         144
        .size:           4
        .value_kind:     hidden_block_count_z
      - .offset:         148
        .size:           2
        .value_kind:     hidden_group_size_x
      - .offset:         150
        .size:           2
        .value_kind:     hidden_group_size_y
      - .offset:         152
        .size:           2
        .value_kind:     hidden_group_size_z
      - .offset:         154
        .size:           2
        .value_kind:     hidden_remainder_x
      - .offset:         156
        .size:           2
        .value_kind:     hidden_remainder_y
      - .offset:         158
        .size:           2
        .value_kind:     hidden_remainder_z
      - .offset:         176
        .size:           8
        .value_kind:     hidden_global_offset_x
      - .offset:         184
        .size:           8
        .value_kind:     hidden_global_offset_y
      - .offset:         192
        .size:           8
        .value_kind:     hidden_global_offset_z
      - .offset:         200
        .size:           2
        .value_kind:     hidden_grid_dims
    .group_segment_fixed_size: 1024
    .kernarg_segment_align: 8
    .kernarg_segment_size: 392
    .language:       OpenCL C
    .language_version:
      - 2
      - 0
    .max_flat_workgroup_size: 64
    .name:           _ZN9rocsparseL29bsrmmnt_small_blockdim_kernelILj64ELj32ELj2EliffffEEv20rocsparse_direction_T3_S2_llNS_24const_host_device_scalarIT7_EEPKT2_PKS2_PKT4_PKT5_llS5_PT6_ll16rocsparse_order_21rocsparse_index_base_b
    .private_segment_fixed_size: 0
    .sgpr_count:     28
    .sgpr_spill_count: 0
    .symbol:         _ZN9rocsparseL29bsrmmnt_small_blockdim_kernelILj64ELj32ELj2EliffffEEv20rocsparse_direction_T3_S2_llNS_24const_host_device_scalarIT7_EEPKT2_PKS2_PKT4_PKT5_llS5_PT6_ll16rocsparse_order_21rocsparse_index_base_b.kd
    .uniform_work_group_size: 1
    .uses_dynamic_stack: false
    .vgpr_count:     39
    .vgpr_spill_count: 0
    .wavefront_size: 32
    .workgroup_processor_mode: 1
  - .args:
      - .offset:         0
        .size:           4
        .value_kind:     by_value
      - .offset:         4
        .size:           4
        .value_kind:     by_value
      - .offset:         8
        .size:           4
        .value_kind:     by_value
      - .offset:         16
        .size:           8
        .value_kind:     by_value
      - .offset:         24
        .size:           8
        .value_kind:     by_value
      - .offset:         32
        .size:           8
        .value_kind:     by_value
      - .actual_access:  read_only
        .address_space:  global
        .offset:         40
        .size:           8
        .value_kind:     global_buffer
      - .actual_access:  read_only
        .address_space:  global
        .offset:         48
        .size:           8
        .value_kind:     global_buffer
      - .actual_access:  read_only
        .address_space:  global
        .offset:         56
        .size:           8
        .value_kind:     global_buffer
      - .actual_access:  read_only
        .address_space:  global
        .offset:         64
        .size:           8
        .value_kind:     global_buffer
      - .offset:         72
        .size:           8
        .value_kind:     by_value
      - .offset:         80
        .size:           8
        .value_kind:     by_value
      - .offset:         88
        .size:           8
        .value_kind:     by_value
      - .address_space:  global
        .offset:         96
        .size:           8
        .value_kind:     global_buffer
      - .offset:         104
        .size:           8
        .value_kind:     by_value
      - .offset:         112
        .size:           8
        .value_kind:     by_value
      - .offset:         120
        .size:           4
        .value_kind:     by_value
      - .offset:         124
        .size:           4
        .value_kind:     by_value
      - .offset:         128
        .size:           1
        .value_kind:     by_value
      - .offset:         136
        .size:           4
        .value_kind:     hidden_block_count_x
      - .offset:         140
        .size:           4
        .value_kind:     hidden_block_count_y
      - .offset:         144
        .size:           4
        .value_kind:     hidden_block_count_z
      - .offset:         148
        .size:           2
        .value_kind:     hidden_group_size_x
      - .offset:         150
        .size:           2
        .value_kind:     hidden_group_size_y
      - .offset:         152
        .size:           2
        .value_kind:     hidden_group_size_z
      - .offset:         154
        .size:           2
        .value_kind:     hidden_remainder_x
      - .offset:         156
        .size:           2
        .value_kind:     hidden_remainder_y
      - .offset:         158
        .size:           2
        .value_kind:     hidden_remainder_z
      - .offset:         176
        .size:           8
        .value_kind:     hidden_global_offset_x
      - .offset:         184
        .size:           8
        .value_kind:     hidden_global_offset_y
      - .offset:         192
        .size:           8
        .value_kind:     hidden_global_offset_z
      - .offset:         200
        .size:           2
        .value_kind:     hidden_grid_dims
    .group_segment_fixed_size: 1024
    .kernarg_segment_align: 8
    .kernarg_segment_size: 392
    .language:       OpenCL C
    .language_version:
      - 2
      - 0
    .max_flat_workgroup_size: 64
    .name:           _ZN9rocsparseL29bsrmmnt_small_blockdim_kernelILj64ELj64ELj2EliffffEEv20rocsparse_direction_T3_S2_llNS_24const_host_device_scalarIT7_EEPKT2_PKS2_PKT4_PKT5_llS5_PT6_ll16rocsparse_order_21rocsparse_index_base_b
    .private_segment_fixed_size: 0
    .sgpr_count:     28
    .sgpr_spill_count: 0
    .symbol:         _ZN9rocsparseL29bsrmmnt_small_blockdim_kernelILj64ELj64ELj2EliffffEEv20rocsparse_direction_T3_S2_llNS_24const_host_device_scalarIT7_EEPKT2_PKS2_PKT4_PKT5_llS5_PT6_ll16rocsparse_order_21rocsparse_index_base_b.kd
    .uniform_work_group_size: 1
    .uses_dynamic_stack: false
    .vgpr_count:     37
    .vgpr_spill_count: 0
    .wavefront_size: 32
    .workgroup_processor_mode: 1
  - .args:
      - .offset:         0
        .size:           4
        .value_kind:     by_value
      - .offset:         8
        .size:           8
        .value_kind:     by_value
      - .offset:         16
        .size:           8
        .value_kind:     by_value
      - .offset:         24
        .size:           8
        .value_kind:     by_value
      - .offset:         32
        .size:           8
        .value_kind:     by_value
      - .offset:         40
        .size:           8
        .value_kind:     by_value
      - .actual_access:  read_only
        .address_space:  global
        .offset:         48
        .size:           8
        .value_kind:     global_buffer
      - .actual_access:  read_only
        .address_space:  global
        .offset:         56
        .size:           8
        .value_kind:     global_buffer
      - .actual_access:  read_only
        .address_space:  global
        .offset:         64
        .size:           8
        .value_kind:     global_buffer
      - .actual_access:  read_only
        .address_space:  global
        .offset:         72
        .size:           8
        .value_kind:     global_buffer
      - .offset:         80
        .size:           8
        .value_kind:     by_value
      - .offset:         88
        .size:           8
        .value_kind:     by_value
      - .offset:         96
        .size:           8
        .value_kind:     by_value
      - .address_space:  global
        .offset:         104
        .size:           8
        .value_kind:     global_buffer
      - .offset:         112
        .size:           8
        .value_kind:     by_value
      - .offset:         120
        .size:           8
        .value_kind:     by_value
      - .offset:         128
        .size:           4
        .value_kind:     by_value
      - .offset:         132
        .size:           4
        .value_kind:     by_value
      - .offset:         136
        .size:           1
        .value_kind:     by_value
      - .offset:         144
        .size:           4
        .value_kind:     hidden_block_count_x
      - .offset:         148
        .size:           4
        .value_kind:     hidden_block_count_y
      - .offset:         152
        .size:           4
        .value_kind:     hidden_block_count_z
      - .offset:         156
        .size:           2
        .value_kind:     hidden_group_size_x
      - .offset:         158
        .size:           2
        .value_kind:     hidden_group_size_y
      - .offset:         160
        .size:           2
        .value_kind:     hidden_group_size_z
      - .offset:         162
        .size:           2
        .value_kind:     hidden_remainder_x
      - .offset:         164
        .size:           2
        .value_kind:     hidden_remainder_y
      - .offset:         166
        .size:           2
        .value_kind:     hidden_remainder_z
      - .offset:         184
        .size:           8
        .value_kind:     hidden_global_offset_x
      - .offset:         192
        .size:           8
        .value_kind:     hidden_global_offset_y
      - .offset:         200
        .size:           8
        .value_kind:     hidden_global_offset_z
      - .offset:         208
        .size:           2
        .value_kind:     hidden_grid_dims
    .group_segment_fixed_size: 1280
    .kernarg_segment_align: 8
    .kernarg_segment_size: 400
    .language:       OpenCL C
    .language_version:
      - 2
      - 0
    .max_flat_workgroup_size: 64
    .name:           _ZN9rocsparseL29bsrmmnt_small_blockdim_kernelILj64ELj8ELj2EllffffEEv20rocsparse_direction_T3_S2_llNS_24const_host_device_scalarIT7_EEPKT2_PKS2_PKT4_PKT5_llS5_PT6_ll16rocsparse_order_21rocsparse_index_base_b
    .private_segment_fixed_size: 0
    .sgpr_count:     30
    .sgpr_spill_count: 0
    .symbol:         _ZN9rocsparseL29bsrmmnt_small_blockdim_kernelILj64ELj8ELj2EllffffEEv20rocsparse_direction_T3_S2_llNS_24const_host_device_scalarIT7_EEPKT2_PKS2_PKT4_PKT5_llS5_PT6_ll16rocsparse_order_21rocsparse_index_base_b.kd
    .uniform_work_group_size: 1
    .uses_dynamic_stack: false
    .vgpr_count:     32
    .vgpr_spill_count: 0
    .wavefront_size: 32
    .workgroup_processor_mode: 1
  - .args:
      - .offset:         0
        .size:           4
        .value_kind:     by_value
      - .offset:         8
        .size:           8
        .value_kind:     by_value
      - .offset:         16
        .size:           8
        .value_kind:     by_value
      - .offset:         24
        .size:           8
        .value_kind:     by_value
      - .offset:         32
        .size:           8
        .value_kind:     by_value
      - .offset:         40
        .size:           8
        .value_kind:     by_value
      - .actual_access:  read_only
        .address_space:  global
        .offset:         48
        .size:           8
        .value_kind:     global_buffer
      - .actual_access:  read_only
        .address_space:  global
        .offset:         56
        .size:           8
        .value_kind:     global_buffer
      - .actual_access:  read_only
        .address_space:  global
        .offset:         64
        .size:           8
        .value_kind:     global_buffer
      - .actual_access:  read_only
        .address_space:  global
        .offset:         72
        .size:           8
        .value_kind:     global_buffer
      - .offset:         80
        .size:           8
        .value_kind:     by_value
      - .offset:         88
        .size:           8
        .value_kind:     by_value
      - .offset:         96
        .size:           8
        .value_kind:     by_value
      - .address_space:  global
        .offset:         104
        .size:           8
        .value_kind:     global_buffer
      - .offset:         112
        .size:           8
        .value_kind:     by_value
      - .offset:         120
        .size:           8
        .value_kind:     by_value
      - .offset:         128
        .size:           4
        .value_kind:     by_value
      - .offset:         132
        .size:           4
        .value_kind:     by_value
      - .offset:         136
        .size:           1
        .value_kind:     by_value
      - .offset:         144
        .size:           4
        .value_kind:     hidden_block_count_x
      - .offset:         148
        .size:           4
        .value_kind:     hidden_block_count_y
      - .offset:         152
        .size:           4
        .value_kind:     hidden_block_count_z
      - .offset:         156
        .size:           2
        .value_kind:     hidden_group_size_x
      - .offset:         158
        .size:           2
        .value_kind:     hidden_group_size_y
      - .offset:         160
        .size:           2
        .value_kind:     hidden_group_size_z
      - .offset:         162
        .size:           2
        .value_kind:     hidden_remainder_x
      - .offset:         164
        .size:           2
        .value_kind:     hidden_remainder_y
      - .offset:         166
        .size:           2
        .value_kind:     hidden_remainder_z
      - .offset:         184
        .size:           8
        .value_kind:     hidden_global_offset_x
      - .offset:         192
        .size:           8
        .value_kind:     hidden_global_offset_y
      - .offset:         200
        .size:           8
        .value_kind:     hidden_global_offset_z
      - .offset:         208
        .size:           2
        .value_kind:     hidden_grid_dims
    .group_segment_fixed_size: 1280
    .kernarg_segment_align: 8
    .kernarg_segment_size: 400
    .language:       OpenCL C
    .language_version:
      - 2
      - 0
    .max_flat_workgroup_size: 64
    .name:           _ZN9rocsparseL29bsrmmnt_small_blockdim_kernelILj64ELj16ELj2EllffffEEv20rocsparse_direction_T3_S2_llNS_24const_host_device_scalarIT7_EEPKT2_PKS2_PKT4_PKT5_llS5_PT6_ll16rocsparse_order_21rocsparse_index_base_b
    .private_segment_fixed_size: 0
    .sgpr_count:     30
    .sgpr_spill_count: 0
    .symbol:         _ZN9rocsparseL29bsrmmnt_small_blockdim_kernelILj64ELj16ELj2EllffffEEv20rocsparse_direction_T3_S2_llNS_24const_host_device_scalarIT7_EEPKT2_PKS2_PKT4_PKT5_llS5_PT6_ll16rocsparse_order_21rocsparse_index_base_b.kd
    .uniform_work_group_size: 1
    .uses_dynamic_stack: false
    .vgpr_count:     32
    .vgpr_spill_count: 0
    .wavefront_size: 32
    .workgroup_processor_mode: 1
  - .args:
      - .offset:         0
        .size:           4
        .value_kind:     by_value
      - .offset:         8
        .size:           8
        .value_kind:     by_value
      - .offset:         16
        .size:           8
        .value_kind:     by_value
      - .offset:         24
        .size:           8
        .value_kind:     by_value
      - .offset:         32
        .size:           8
        .value_kind:     by_value
      - .offset:         40
        .size:           8
        .value_kind:     by_value
      - .actual_access:  read_only
        .address_space:  global
        .offset:         48
        .size:           8
        .value_kind:     global_buffer
      - .actual_access:  read_only
        .address_space:  global
        .offset:         56
        .size:           8
        .value_kind:     global_buffer
      - .actual_access:  read_only
        .address_space:  global
        .offset:         64
        .size:           8
        .value_kind:     global_buffer
      - .actual_access:  read_only
        .address_space:  global
        .offset:         72
        .size:           8
        .value_kind:     global_buffer
      - .offset:         80
        .size:           8
        .value_kind:     by_value
      - .offset:         88
        .size:           8
        .value_kind:     by_value
      - .offset:         96
        .size:           8
        .value_kind:     by_value
      - .address_space:  global
        .offset:         104
        .size:           8
        .value_kind:     global_buffer
      - .offset:         112
        .size:           8
        .value_kind:     by_value
      - .offset:         120
        .size:           8
        .value_kind:     by_value
      - .offset:         128
        .size:           4
        .value_kind:     by_value
      - .offset:         132
        .size:           4
        .value_kind:     by_value
      - .offset:         136
        .size:           1
        .value_kind:     by_value
      - .offset:         144
        .size:           4
        .value_kind:     hidden_block_count_x
      - .offset:         148
        .size:           4
        .value_kind:     hidden_block_count_y
      - .offset:         152
        .size:           4
        .value_kind:     hidden_block_count_z
      - .offset:         156
        .size:           2
        .value_kind:     hidden_group_size_x
      - .offset:         158
        .size:           2
        .value_kind:     hidden_group_size_y
      - .offset:         160
        .size:           2
        .value_kind:     hidden_group_size_z
      - .offset:         162
        .size:           2
        .value_kind:     hidden_remainder_x
      - .offset:         164
        .size:           2
        .value_kind:     hidden_remainder_y
      - .offset:         166
        .size:           2
        .value_kind:     hidden_remainder_z
      - .offset:         184
        .size:           8
        .value_kind:     hidden_global_offset_x
      - .offset:         192
        .size:           8
        .value_kind:     hidden_global_offset_y
      - .offset:         200
        .size:           8
        .value_kind:     hidden_global_offset_z
      - .offset:         208
        .size:           2
        .value_kind:     hidden_grid_dims
    .group_segment_fixed_size: 1280
    .kernarg_segment_align: 8
    .kernarg_segment_size: 400
    .language:       OpenCL C
    .language_version:
      - 2
      - 0
    .max_flat_workgroup_size: 64
    .name:           _ZN9rocsparseL29bsrmmnt_small_blockdim_kernelILj64ELj32ELj2EllffffEEv20rocsparse_direction_T3_S2_llNS_24const_host_device_scalarIT7_EEPKT2_PKS2_PKT4_PKT5_llS5_PT6_ll16rocsparse_order_21rocsparse_index_base_b
    .private_segment_fixed_size: 0
    .sgpr_count:     30
    .sgpr_spill_count: 0
    .symbol:         _ZN9rocsparseL29bsrmmnt_small_blockdim_kernelILj64ELj32ELj2EllffffEEv20rocsparse_direction_T3_S2_llNS_24const_host_device_scalarIT7_EEPKT2_PKS2_PKT4_PKT5_llS5_PT6_ll16rocsparse_order_21rocsparse_index_base_b.kd
    .uniform_work_group_size: 1
    .uses_dynamic_stack: false
    .vgpr_count:     32
    .vgpr_spill_count: 0
    .wavefront_size: 32
    .workgroup_processor_mode: 1
  - .args:
      - .offset:         0
        .size:           4
        .value_kind:     by_value
      - .offset:         8
        .size:           8
        .value_kind:     by_value
      - .offset:         16
        .size:           8
        .value_kind:     by_value
      - .offset:         24
        .size:           8
        .value_kind:     by_value
      - .offset:         32
        .size:           8
        .value_kind:     by_value
      - .offset:         40
        .size:           8
        .value_kind:     by_value
      - .actual_access:  read_only
        .address_space:  global
        .offset:         48
        .size:           8
        .value_kind:     global_buffer
      - .actual_access:  read_only
        .address_space:  global
        .offset:         56
        .size:           8
        .value_kind:     global_buffer
      - .actual_access:  read_only
        .address_space:  global
        .offset:         64
        .size:           8
        .value_kind:     global_buffer
      - .actual_access:  read_only
        .address_space:  global
        .offset:         72
        .size:           8
        .value_kind:     global_buffer
      - .offset:         80
        .size:           8
        .value_kind:     by_value
      - .offset:         88
        .size:           8
        .value_kind:     by_value
      - .offset:         96
        .size:           8
        .value_kind:     by_value
      - .address_space:  global
        .offset:         104
        .size:           8
        .value_kind:     global_buffer
      - .offset:         112
        .size:           8
        .value_kind:     by_value
      - .offset:         120
        .size:           8
        .value_kind:     by_value
      - .offset:         128
        .size:           4
        .value_kind:     by_value
      - .offset:         132
        .size:           4
        .value_kind:     by_value
      - .offset:         136
        .size:           1
        .value_kind:     by_value
      - .offset:         144
        .size:           4
        .value_kind:     hidden_block_count_x
      - .offset:         148
        .size:           4
        .value_kind:     hidden_block_count_y
      - .offset:         152
        .size:           4
        .value_kind:     hidden_block_count_z
      - .offset:         156
        .size:           2
        .value_kind:     hidden_group_size_x
      - .offset:         158
        .size:           2
        .value_kind:     hidden_group_size_y
      - .offset:         160
        .size:           2
        .value_kind:     hidden_group_size_z
      - .offset:         162
        .size:           2
        .value_kind:     hidden_remainder_x
      - .offset:         164
        .size:           2
        .value_kind:     hidden_remainder_y
      - .offset:         166
        .size:           2
        .value_kind:     hidden_remainder_z
      - .offset:         184
        .size:           8
        .value_kind:     hidden_global_offset_x
      - .offset:         192
        .size:           8
        .value_kind:     hidden_global_offset_y
      - .offset:         200
        .size:           8
        .value_kind:     hidden_global_offset_z
      - .offset:         208
        .size:           2
        .value_kind:     hidden_grid_dims
    .group_segment_fixed_size: 1280
    .kernarg_segment_align: 8
    .kernarg_segment_size: 400
    .language:       OpenCL C
    .language_version:
      - 2
      - 0
    .max_flat_workgroup_size: 64
    .name:           _ZN9rocsparseL29bsrmmnt_small_blockdim_kernelILj64ELj64ELj2EllffffEEv20rocsparse_direction_T3_S2_llNS_24const_host_device_scalarIT7_EEPKT2_PKS2_PKT4_PKT5_llS5_PT6_ll16rocsparse_order_21rocsparse_index_base_b
    .private_segment_fixed_size: 0
    .sgpr_count:     30
    .sgpr_spill_count: 0
    .symbol:         _ZN9rocsparseL29bsrmmnt_small_blockdim_kernelILj64ELj64ELj2EllffffEEv20rocsparse_direction_T3_S2_llNS_24const_host_device_scalarIT7_EEPKT2_PKS2_PKT4_PKT5_llS5_PT6_ll16rocsparse_order_21rocsparse_index_base_b.kd
    .uniform_work_group_size: 1
    .uses_dynamic_stack: false
    .vgpr_count:     30
    .vgpr_spill_count: 0
    .wavefront_size: 32
    .workgroup_processor_mode: 1
  - .args:
      - .offset:         0
        .size:           4
        .value_kind:     by_value
      - .offset:         4
        .size:           4
        .value_kind:     by_value
      - .offset:         8
        .size:           4
        .value_kind:     by_value
      - .offset:         16
        .size:           8
        .value_kind:     by_value
      - .offset:         24
        .size:           8
        .value_kind:     by_value
      - .offset:         32
        .size:           8
        .value_kind:     by_value
      - .actual_access:  read_only
        .address_space:  global
        .offset:         40
        .size:           8
        .value_kind:     global_buffer
      - .actual_access:  read_only
        .address_space:  global
        .offset:         48
        .size:           8
        .value_kind:     global_buffer
      - .actual_access:  read_only
        .address_space:  global
        .offset:         56
        .size:           8
        .value_kind:     global_buffer
      - .actual_access:  read_only
        .address_space:  global
        .offset:         64
        .size:           8
        .value_kind:     global_buffer
      - .offset:         72
        .size:           8
        .value_kind:     by_value
      - .offset:         80
        .size:           8
        .value_kind:     by_value
      - .offset:         88
        .size:           8
        .value_kind:     by_value
      - .address_space:  global
        .offset:         96
        .size:           8
        .value_kind:     global_buffer
      - .offset:         104
        .size:           8
        .value_kind:     by_value
      - .offset:         112
        .size:           8
        .value_kind:     by_value
      - .offset:         120
        .size:           4
        .value_kind:     by_value
      - .offset:         124
        .size:           4
        .value_kind:     by_value
      - .offset:         128
        .size:           1
        .value_kind:     by_value
      - .offset:         136
        .size:           4
        .value_kind:     hidden_block_count_x
      - .offset:         140
        .size:           4
        .value_kind:     hidden_block_count_y
      - .offset:         144
        .size:           4
        .value_kind:     hidden_block_count_z
      - .offset:         148
        .size:           2
        .value_kind:     hidden_group_size_x
      - .offset:         150
        .size:           2
        .value_kind:     hidden_group_size_y
      - .offset:         152
        .size:           2
        .value_kind:     hidden_group_size_z
      - .offset:         154
        .size:           2
        .value_kind:     hidden_remainder_x
      - .offset:         156
        .size:           2
        .value_kind:     hidden_remainder_y
      - .offset:         158
        .size:           2
        .value_kind:     hidden_remainder_z
      - .offset:         176
        .size:           8
        .value_kind:     hidden_global_offset_x
      - .offset:         184
        .size:           8
        .value_kind:     hidden_global_offset_y
      - .offset:         192
        .size:           8
        .value_kind:     hidden_global_offset_z
      - .offset:         200
        .size:           2
        .value_kind:     hidden_grid_dims
    .group_segment_fixed_size: 1792
    .kernarg_segment_align: 8
    .kernarg_segment_size: 392
    .language:       OpenCL C
    .language_version:
      - 2
      - 0
    .max_flat_workgroup_size: 64
    .name:           _ZN9rocsparseL29bsrmmnt_small_blockdim_kernelILj64ELj8ELj2EiiddddEEv20rocsparse_direction_T3_S2_llNS_24const_host_device_scalarIT7_EEPKT2_PKS2_PKT4_PKT5_llS5_PT6_ll16rocsparse_order_21rocsparse_index_base_b
    .private_segment_fixed_size: 0
    .sgpr_count:     26
    .sgpr_spill_count: 0
    .symbol:         _ZN9rocsparseL29bsrmmnt_small_blockdim_kernelILj64ELj8ELj2EiiddddEEv20rocsparse_direction_T3_S2_llNS_24const_host_device_scalarIT7_EEPKT2_PKS2_PKT4_PKT5_llS5_PT6_ll16rocsparse_order_21rocsparse_index_base_b.kd
    .uniform_work_group_size: 1
    .uses_dynamic_stack: false
    .vgpr_count:     43
    .vgpr_spill_count: 0
    .wavefront_size: 32
    .workgroup_processor_mode: 1
  - .args:
      - .offset:         0
        .size:           4
        .value_kind:     by_value
      - .offset:         4
        .size:           4
        .value_kind:     by_value
      - .offset:         8
        .size:           4
        .value_kind:     by_value
      - .offset:         16
        .size:           8
        .value_kind:     by_value
      - .offset:         24
        .size:           8
        .value_kind:     by_value
      - .offset:         32
        .size:           8
        .value_kind:     by_value
      - .actual_access:  read_only
        .address_space:  global
        .offset:         40
        .size:           8
        .value_kind:     global_buffer
      - .actual_access:  read_only
        .address_space:  global
        .offset:         48
        .size:           8
        .value_kind:     global_buffer
      - .actual_access:  read_only
        .address_space:  global
        .offset:         56
        .size:           8
        .value_kind:     global_buffer
      - .actual_access:  read_only
        .address_space:  global
        .offset:         64
        .size:           8
        .value_kind:     global_buffer
      - .offset:         72
        .size:           8
        .value_kind:     by_value
      - .offset:         80
        .size:           8
        .value_kind:     by_value
      - .offset:         88
        .size:           8
        .value_kind:     by_value
      - .address_space:  global
        .offset:         96
        .size:           8
        .value_kind:     global_buffer
      - .offset:         104
        .size:           8
        .value_kind:     by_value
      - .offset:         112
        .size:           8
        .value_kind:     by_value
      - .offset:         120
        .size:           4
        .value_kind:     by_value
      - .offset:         124
        .size:           4
        .value_kind:     by_value
      - .offset:         128
        .size:           1
        .value_kind:     by_value
      - .offset:         136
        .size:           4
        .value_kind:     hidden_block_count_x
      - .offset:         140
        .size:           4
        .value_kind:     hidden_block_count_y
      - .offset:         144
        .size:           4
        .value_kind:     hidden_block_count_z
      - .offset:         148
        .size:           2
        .value_kind:     hidden_group_size_x
      - .offset:         150
        .size:           2
        .value_kind:     hidden_group_size_y
      - .offset:         152
        .size:           2
        .value_kind:     hidden_group_size_z
      - .offset:         154
        .size:           2
        .value_kind:     hidden_remainder_x
      - .offset:         156
        .size:           2
        .value_kind:     hidden_remainder_y
      - .offset:         158
        .size:           2
        .value_kind:     hidden_remainder_z
      - .offset:         176
        .size:           8
        .value_kind:     hidden_global_offset_x
      - .offset:         184
        .size:           8
        .value_kind:     hidden_global_offset_y
      - .offset:         192
        .size:           8
        .value_kind:     hidden_global_offset_z
      - .offset:         200
        .size:           2
        .value_kind:     hidden_grid_dims
    .group_segment_fixed_size: 1792
    .kernarg_segment_align: 8
    .kernarg_segment_size: 392
    .language:       OpenCL C
    .language_version:
      - 2
      - 0
    .max_flat_workgroup_size: 64
    .name:           _ZN9rocsparseL29bsrmmnt_small_blockdim_kernelILj64ELj16ELj2EiiddddEEv20rocsparse_direction_T3_S2_llNS_24const_host_device_scalarIT7_EEPKT2_PKS2_PKT4_PKT5_llS5_PT6_ll16rocsparse_order_21rocsparse_index_base_b
    .private_segment_fixed_size: 0
    .sgpr_count:     26
    .sgpr_spill_count: 0
    .symbol:         _ZN9rocsparseL29bsrmmnt_small_blockdim_kernelILj64ELj16ELj2EiiddddEEv20rocsparse_direction_T3_S2_llNS_24const_host_device_scalarIT7_EEPKT2_PKS2_PKT4_PKT5_llS5_PT6_ll16rocsparse_order_21rocsparse_index_base_b.kd
    .uniform_work_group_size: 1
    .uses_dynamic_stack: false
    .vgpr_count:     43
    .vgpr_spill_count: 0
    .wavefront_size: 32
    .workgroup_processor_mode: 1
  - .args:
      - .offset:         0
        .size:           4
        .value_kind:     by_value
      - .offset:         4
        .size:           4
        .value_kind:     by_value
      - .offset:         8
        .size:           4
        .value_kind:     by_value
      - .offset:         16
        .size:           8
        .value_kind:     by_value
      - .offset:         24
        .size:           8
        .value_kind:     by_value
      - .offset:         32
        .size:           8
        .value_kind:     by_value
      - .actual_access:  read_only
        .address_space:  global
        .offset:         40
        .size:           8
        .value_kind:     global_buffer
      - .actual_access:  read_only
        .address_space:  global
        .offset:         48
        .size:           8
        .value_kind:     global_buffer
      - .actual_access:  read_only
        .address_space:  global
        .offset:         56
        .size:           8
        .value_kind:     global_buffer
      - .actual_access:  read_only
        .address_space:  global
        .offset:         64
        .size:           8
        .value_kind:     global_buffer
      - .offset:         72
        .size:           8
        .value_kind:     by_value
      - .offset:         80
        .size:           8
        .value_kind:     by_value
      - .offset:         88
        .size:           8
        .value_kind:     by_value
      - .address_space:  global
        .offset:         96
        .size:           8
        .value_kind:     global_buffer
      - .offset:         104
        .size:           8
        .value_kind:     by_value
      - .offset:         112
        .size:           8
        .value_kind:     by_value
      - .offset:         120
        .size:           4
        .value_kind:     by_value
      - .offset:         124
        .size:           4
        .value_kind:     by_value
      - .offset:         128
        .size:           1
        .value_kind:     by_value
      - .offset:         136
        .size:           4
        .value_kind:     hidden_block_count_x
      - .offset:         140
        .size:           4
        .value_kind:     hidden_block_count_y
      - .offset:         144
        .size:           4
        .value_kind:     hidden_block_count_z
      - .offset:         148
        .size:           2
        .value_kind:     hidden_group_size_x
      - .offset:         150
        .size:           2
        .value_kind:     hidden_group_size_y
      - .offset:         152
        .size:           2
        .value_kind:     hidden_group_size_z
      - .offset:         154
        .size:           2
        .value_kind:     hidden_remainder_x
      - .offset:         156
        .size:           2
        .value_kind:     hidden_remainder_y
      - .offset:         158
        .size:           2
        .value_kind:     hidden_remainder_z
      - .offset:         176
        .size:           8
        .value_kind:     hidden_global_offset_x
      - .offset:         184
        .size:           8
        .value_kind:     hidden_global_offset_y
      - .offset:         192
        .size:           8
        .value_kind:     hidden_global_offset_z
      - .offset:         200
        .size:           2
        .value_kind:     hidden_grid_dims
    .group_segment_fixed_size: 1792
    .kernarg_segment_align: 8
    .kernarg_segment_size: 392
    .language:       OpenCL C
    .language_version:
      - 2
      - 0
    .max_flat_workgroup_size: 64
    .name:           _ZN9rocsparseL29bsrmmnt_small_blockdim_kernelILj64ELj32ELj2EiiddddEEv20rocsparse_direction_T3_S2_llNS_24const_host_device_scalarIT7_EEPKT2_PKS2_PKT4_PKT5_llS5_PT6_ll16rocsparse_order_21rocsparse_index_base_b
    .private_segment_fixed_size: 0
    .sgpr_count:     26
    .sgpr_spill_count: 0
    .symbol:         _ZN9rocsparseL29bsrmmnt_small_blockdim_kernelILj64ELj32ELj2EiiddddEEv20rocsparse_direction_T3_S2_llNS_24const_host_device_scalarIT7_EEPKT2_PKS2_PKT4_PKT5_llS5_PT6_ll16rocsparse_order_21rocsparse_index_base_b.kd
    .uniform_work_group_size: 1
    .uses_dynamic_stack: false
    .vgpr_count:     43
    .vgpr_spill_count: 0
    .wavefront_size: 32
    .workgroup_processor_mode: 1
  - .args:
      - .offset:         0
        .size:           4
        .value_kind:     by_value
      - .offset:         4
        .size:           4
        .value_kind:     by_value
      - .offset:         8
        .size:           4
        .value_kind:     by_value
      - .offset:         16
        .size:           8
        .value_kind:     by_value
      - .offset:         24
        .size:           8
        .value_kind:     by_value
      - .offset:         32
        .size:           8
        .value_kind:     by_value
      - .actual_access:  read_only
        .address_space:  global
        .offset:         40
        .size:           8
        .value_kind:     global_buffer
      - .actual_access:  read_only
        .address_space:  global
        .offset:         48
        .size:           8
        .value_kind:     global_buffer
      - .actual_access:  read_only
        .address_space:  global
        .offset:         56
        .size:           8
        .value_kind:     global_buffer
      - .actual_access:  read_only
        .address_space:  global
        .offset:         64
        .size:           8
        .value_kind:     global_buffer
      - .offset:         72
        .size:           8
        .value_kind:     by_value
      - .offset:         80
        .size:           8
        .value_kind:     by_value
      - .offset:         88
        .size:           8
        .value_kind:     by_value
      - .address_space:  global
        .offset:         96
        .size:           8
        .value_kind:     global_buffer
      - .offset:         104
        .size:           8
        .value_kind:     by_value
      - .offset:         112
        .size:           8
        .value_kind:     by_value
      - .offset:         120
        .size:           4
        .value_kind:     by_value
      - .offset:         124
        .size:           4
        .value_kind:     by_value
      - .offset:         128
        .size:           1
        .value_kind:     by_value
      - .offset:         136
        .size:           4
        .value_kind:     hidden_block_count_x
      - .offset:         140
        .size:           4
        .value_kind:     hidden_block_count_y
      - .offset:         144
        .size:           4
        .value_kind:     hidden_block_count_z
      - .offset:         148
        .size:           2
        .value_kind:     hidden_group_size_x
      - .offset:         150
        .size:           2
        .value_kind:     hidden_group_size_y
      - .offset:         152
        .size:           2
        .value_kind:     hidden_group_size_z
      - .offset:         154
        .size:           2
        .value_kind:     hidden_remainder_x
      - .offset:         156
        .size:           2
        .value_kind:     hidden_remainder_y
      - .offset:         158
        .size:           2
        .value_kind:     hidden_remainder_z
      - .offset:         176
        .size:           8
        .value_kind:     hidden_global_offset_x
      - .offset:         184
        .size:           8
        .value_kind:     hidden_global_offset_y
      - .offset:         192
        .size:           8
        .value_kind:     hidden_global_offset_z
      - .offset:         200
        .size:           2
        .value_kind:     hidden_grid_dims
    .group_segment_fixed_size: 1792
    .kernarg_segment_align: 8
    .kernarg_segment_size: 392
    .language:       OpenCL C
    .language_version:
      - 2
      - 0
    .max_flat_workgroup_size: 64
    .name:           _ZN9rocsparseL29bsrmmnt_small_blockdim_kernelILj64ELj64ELj2EiiddddEEv20rocsparse_direction_T3_S2_llNS_24const_host_device_scalarIT7_EEPKT2_PKS2_PKT4_PKT5_llS5_PT6_ll16rocsparse_order_21rocsparse_index_base_b
    .private_segment_fixed_size: 0
    .sgpr_count:     26
    .sgpr_spill_count: 0
    .symbol:         _ZN9rocsparseL29bsrmmnt_small_blockdim_kernelILj64ELj64ELj2EiiddddEEv20rocsparse_direction_T3_S2_llNS_24const_host_device_scalarIT7_EEPKT2_PKS2_PKT4_PKT5_llS5_PT6_ll16rocsparse_order_21rocsparse_index_base_b.kd
    .uniform_work_group_size: 1
    .uses_dynamic_stack: false
    .vgpr_count:     41
    .vgpr_spill_count: 0
    .wavefront_size: 32
    .workgroup_processor_mode: 1
  - .args:
      - .offset:         0
        .size:           4
        .value_kind:     by_value
      - .offset:         4
        .size:           4
        .value_kind:     by_value
      - .offset:         8
        .size:           4
        .value_kind:     by_value
      - .offset:         16
        .size:           8
        .value_kind:     by_value
      - .offset:         24
        .size:           8
        .value_kind:     by_value
      - .offset:         32
        .size:           8
        .value_kind:     by_value
      - .actual_access:  read_only
        .address_space:  global
        .offset:         40
        .size:           8
        .value_kind:     global_buffer
      - .actual_access:  read_only
        .address_space:  global
        .offset:         48
        .size:           8
        .value_kind:     global_buffer
      - .actual_access:  read_only
        .address_space:  global
        .offset:         56
        .size:           8
        .value_kind:     global_buffer
      - .actual_access:  read_only
        .address_space:  global
        .offset:         64
        .size:           8
        .value_kind:     global_buffer
      - .offset:         72
        .size:           8
        .value_kind:     by_value
      - .offset:         80
        .size:           8
        .value_kind:     by_value
      - .offset:         88
        .size:           8
        .value_kind:     by_value
      - .address_space:  global
        .offset:         96
        .size:           8
        .value_kind:     global_buffer
      - .offset:         104
        .size:           8
        .value_kind:     by_value
      - .offset:         112
        .size:           8
        .value_kind:     by_value
      - .offset:         120
        .size:           4
        .value_kind:     by_value
      - .offset:         124
        .size:           4
        .value_kind:     by_value
      - .offset:         128
        .size:           1
        .value_kind:     by_value
      - .offset:         136
        .size:           4
        .value_kind:     hidden_block_count_x
      - .offset:         140
        .size:           4
        .value_kind:     hidden_block_count_y
      - .offset:         144
        .size:           4
        .value_kind:     hidden_block_count_z
      - .offset:         148
        .size:           2
        .value_kind:     hidden_group_size_x
      - .offset:         150
        .size:           2
        .value_kind:     hidden_group_size_y
      - .offset:         152
        .size:           2
        .value_kind:     hidden_group_size_z
      - .offset:         154
        .size:           2
        .value_kind:     hidden_remainder_x
      - .offset:         156
        .size:           2
        .value_kind:     hidden_remainder_y
      - .offset:         158
        .size:           2
        .value_kind:     hidden_remainder_z
      - .offset:         176
        .size:           8
        .value_kind:     hidden_global_offset_x
      - .offset:         184
        .size:           8
        .value_kind:     hidden_global_offset_y
      - .offset:         192
        .size:           8
        .value_kind:     hidden_global_offset_z
      - .offset:         200
        .size:           2
        .value_kind:     hidden_grid_dims
    .group_segment_fixed_size: 1792
    .kernarg_segment_align: 8
    .kernarg_segment_size: 392
    .language:       OpenCL C
    .language_version:
      - 2
      - 0
    .max_flat_workgroup_size: 64
    .name:           _ZN9rocsparseL29bsrmmnt_small_blockdim_kernelILj64ELj8ELj2EliddddEEv20rocsparse_direction_T3_S2_llNS_24const_host_device_scalarIT7_EEPKT2_PKS2_PKT4_PKT5_llS5_PT6_ll16rocsparse_order_21rocsparse_index_base_b
    .private_segment_fixed_size: 0
    .sgpr_count:     26
    .sgpr_spill_count: 0
    .symbol:         _ZN9rocsparseL29bsrmmnt_small_blockdim_kernelILj64ELj8ELj2EliddddEEv20rocsparse_direction_T3_S2_llNS_24const_host_device_scalarIT7_EEPKT2_PKS2_PKT4_PKT5_llS5_PT6_ll16rocsparse_order_21rocsparse_index_base_b.kd
    .uniform_work_group_size: 1
    .uses_dynamic_stack: false
    .vgpr_count:     46
    .vgpr_spill_count: 0
    .wavefront_size: 32
    .workgroup_processor_mode: 1
  - .args:
      - .offset:         0
        .size:           4
        .value_kind:     by_value
      - .offset:         4
        .size:           4
        .value_kind:     by_value
      - .offset:         8
        .size:           4
        .value_kind:     by_value
      - .offset:         16
        .size:           8
        .value_kind:     by_value
      - .offset:         24
        .size:           8
        .value_kind:     by_value
      - .offset:         32
        .size:           8
        .value_kind:     by_value
      - .actual_access:  read_only
        .address_space:  global
        .offset:         40
        .size:           8
        .value_kind:     global_buffer
      - .actual_access:  read_only
        .address_space:  global
        .offset:         48
        .size:           8
        .value_kind:     global_buffer
      - .actual_access:  read_only
        .address_space:  global
        .offset:         56
        .size:           8
        .value_kind:     global_buffer
      - .actual_access:  read_only
        .address_space:  global
        .offset:         64
        .size:           8
        .value_kind:     global_buffer
      - .offset:         72
        .size:           8
        .value_kind:     by_value
      - .offset:         80
        .size:           8
        .value_kind:     by_value
      - .offset:         88
        .size:           8
        .value_kind:     by_value
      - .address_space:  global
        .offset:         96
        .size:           8
        .value_kind:     global_buffer
      - .offset:         104
        .size:           8
        .value_kind:     by_value
      - .offset:         112
        .size:           8
        .value_kind:     by_value
      - .offset:         120
        .size:           4
        .value_kind:     by_value
      - .offset:         124
        .size:           4
        .value_kind:     by_value
      - .offset:         128
        .size:           1
        .value_kind:     by_value
      - .offset:         136
        .size:           4
        .value_kind:     hidden_block_count_x
      - .offset:         140
        .size:           4
        .value_kind:     hidden_block_count_y
      - .offset:         144
        .size:           4
        .value_kind:     hidden_block_count_z
      - .offset:         148
        .size:           2
        .value_kind:     hidden_group_size_x
      - .offset:         150
        .size:           2
        .value_kind:     hidden_group_size_y
      - .offset:         152
        .size:           2
        .value_kind:     hidden_group_size_z
      - .offset:         154
        .size:           2
        .value_kind:     hidden_remainder_x
      - .offset:         156
        .size:           2
        .value_kind:     hidden_remainder_y
      - .offset:         158
        .size:           2
        .value_kind:     hidden_remainder_z
      - .offset:         176
        .size:           8
        .value_kind:     hidden_global_offset_x
      - .offset:         184
        .size:           8
        .value_kind:     hidden_global_offset_y
      - .offset:         192
        .size:           8
        .value_kind:     hidden_global_offset_z
      - .offset:         200
        .size:           2
        .value_kind:     hidden_grid_dims
    .group_segment_fixed_size: 1792
    .kernarg_segment_align: 8
    .kernarg_segment_size: 392
    .language:       OpenCL C
    .language_version:
      - 2
      - 0
    .max_flat_workgroup_size: 64
    .name:           _ZN9rocsparseL29bsrmmnt_small_blockdim_kernelILj64ELj16ELj2EliddddEEv20rocsparse_direction_T3_S2_llNS_24const_host_device_scalarIT7_EEPKT2_PKS2_PKT4_PKT5_llS5_PT6_ll16rocsparse_order_21rocsparse_index_base_b
    .private_segment_fixed_size: 0
    .sgpr_count:     26
    .sgpr_spill_count: 0
    .symbol:         _ZN9rocsparseL29bsrmmnt_small_blockdim_kernelILj64ELj16ELj2EliddddEEv20rocsparse_direction_T3_S2_llNS_24const_host_device_scalarIT7_EEPKT2_PKS2_PKT4_PKT5_llS5_PT6_ll16rocsparse_order_21rocsparse_index_base_b.kd
    .uniform_work_group_size: 1
    .uses_dynamic_stack: false
    .vgpr_count:     46
    .vgpr_spill_count: 0
    .wavefront_size: 32
    .workgroup_processor_mode: 1
  - .args:
      - .offset:         0
        .size:           4
        .value_kind:     by_value
      - .offset:         4
        .size:           4
        .value_kind:     by_value
      - .offset:         8
        .size:           4
        .value_kind:     by_value
      - .offset:         16
        .size:           8
        .value_kind:     by_value
      - .offset:         24
        .size:           8
        .value_kind:     by_value
      - .offset:         32
        .size:           8
        .value_kind:     by_value
      - .actual_access:  read_only
        .address_space:  global
        .offset:         40
        .size:           8
        .value_kind:     global_buffer
      - .actual_access:  read_only
        .address_space:  global
        .offset:         48
        .size:           8
        .value_kind:     global_buffer
      - .actual_access:  read_only
        .address_space:  global
        .offset:         56
        .size:           8
        .value_kind:     global_buffer
      - .actual_access:  read_only
        .address_space:  global
        .offset:         64
        .size:           8
        .value_kind:     global_buffer
      - .offset:         72
        .size:           8
        .value_kind:     by_value
      - .offset:         80
        .size:           8
        .value_kind:     by_value
      - .offset:         88
        .size:           8
        .value_kind:     by_value
      - .address_space:  global
        .offset:         96
        .size:           8
        .value_kind:     global_buffer
      - .offset:         104
        .size:           8
        .value_kind:     by_value
      - .offset:         112
        .size:           8
        .value_kind:     by_value
      - .offset:         120
        .size:           4
        .value_kind:     by_value
      - .offset:         124
        .size:           4
        .value_kind:     by_value
      - .offset:         128
        .size:           1
        .value_kind:     by_value
      - .offset:         136
        .size:           4
        .value_kind:     hidden_block_count_x
      - .offset:         140
        .size:           4
        .value_kind:     hidden_block_count_y
      - .offset:         144
        .size:           4
        .value_kind:     hidden_block_count_z
      - .offset:         148
        .size:           2
        .value_kind:     hidden_group_size_x
      - .offset:         150
        .size:           2
        .value_kind:     hidden_group_size_y
      - .offset:         152
        .size:           2
        .value_kind:     hidden_group_size_z
      - .offset:         154
        .size:           2
        .value_kind:     hidden_remainder_x
      - .offset:         156
        .size:           2
        .value_kind:     hidden_remainder_y
      - .offset:         158
        .size:           2
        .value_kind:     hidden_remainder_z
      - .offset:         176
        .size:           8
        .value_kind:     hidden_global_offset_x
      - .offset:         184
        .size:           8
        .value_kind:     hidden_global_offset_y
      - .offset:         192
        .size:           8
        .value_kind:     hidden_global_offset_z
      - .offset:         200
        .size:           2
        .value_kind:     hidden_grid_dims
    .group_segment_fixed_size: 1792
    .kernarg_segment_align: 8
    .kernarg_segment_size: 392
    .language:       OpenCL C
    .language_version:
      - 2
      - 0
    .max_flat_workgroup_size: 64
    .name:           _ZN9rocsparseL29bsrmmnt_small_blockdim_kernelILj64ELj32ELj2EliddddEEv20rocsparse_direction_T3_S2_llNS_24const_host_device_scalarIT7_EEPKT2_PKS2_PKT4_PKT5_llS5_PT6_ll16rocsparse_order_21rocsparse_index_base_b
    .private_segment_fixed_size: 0
    .sgpr_count:     26
    .sgpr_spill_count: 0
    .symbol:         _ZN9rocsparseL29bsrmmnt_small_blockdim_kernelILj64ELj32ELj2EliddddEEv20rocsparse_direction_T3_S2_llNS_24const_host_device_scalarIT7_EEPKT2_PKS2_PKT4_PKT5_llS5_PT6_ll16rocsparse_order_21rocsparse_index_base_b.kd
    .uniform_work_group_size: 1
    .uses_dynamic_stack: false
    .vgpr_count:     46
    .vgpr_spill_count: 0
    .wavefront_size: 32
    .workgroup_processor_mode: 1
  - .args:
      - .offset:         0
        .size:           4
        .value_kind:     by_value
      - .offset:         4
        .size:           4
        .value_kind:     by_value
      - .offset:         8
        .size:           4
        .value_kind:     by_value
      - .offset:         16
        .size:           8
        .value_kind:     by_value
      - .offset:         24
        .size:           8
        .value_kind:     by_value
      - .offset:         32
        .size:           8
        .value_kind:     by_value
      - .actual_access:  read_only
        .address_space:  global
        .offset:         40
        .size:           8
        .value_kind:     global_buffer
      - .actual_access:  read_only
        .address_space:  global
        .offset:         48
        .size:           8
        .value_kind:     global_buffer
      - .actual_access:  read_only
        .address_space:  global
        .offset:         56
        .size:           8
        .value_kind:     global_buffer
      - .actual_access:  read_only
        .address_space:  global
        .offset:         64
        .size:           8
        .value_kind:     global_buffer
      - .offset:         72
        .size:           8
        .value_kind:     by_value
      - .offset:         80
        .size:           8
        .value_kind:     by_value
      - .offset:         88
        .size:           8
        .value_kind:     by_value
      - .address_space:  global
        .offset:         96
        .size:           8
        .value_kind:     global_buffer
      - .offset:         104
        .size:           8
        .value_kind:     by_value
      - .offset:         112
        .size:           8
        .value_kind:     by_value
      - .offset:         120
        .size:           4
        .value_kind:     by_value
      - .offset:         124
        .size:           4
        .value_kind:     by_value
      - .offset:         128
        .size:           1
        .value_kind:     by_value
      - .offset:         136
        .size:           4
        .value_kind:     hidden_block_count_x
      - .offset:         140
        .size:           4
        .value_kind:     hidden_block_count_y
      - .offset:         144
        .size:           4
        .value_kind:     hidden_block_count_z
      - .offset:         148
        .size:           2
        .value_kind:     hidden_group_size_x
      - .offset:         150
        .size:           2
        .value_kind:     hidden_group_size_y
      - .offset:         152
        .size:           2
        .value_kind:     hidden_group_size_z
      - .offset:         154
        .size:           2
        .value_kind:     hidden_remainder_x
      - .offset:         156
        .size:           2
        .value_kind:     hidden_remainder_y
      - .offset:         158
        .size:           2
        .value_kind:     hidden_remainder_z
      - .offset:         176
        .size:           8
        .value_kind:     hidden_global_offset_x
      - .offset:         184
        .size:           8
        .value_kind:     hidden_global_offset_y
      - .offset:         192
        .size:           8
        .value_kind:     hidden_global_offset_z
      - .offset:         200
        .size:           2
        .value_kind:     hidden_grid_dims
    .group_segment_fixed_size: 1792
    .kernarg_segment_align: 8
    .kernarg_segment_size: 392
    .language:       OpenCL C
    .language_version:
      - 2
      - 0
    .max_flat_workgroup_size: 64
    .name:           _ZN9rocsparseL29bsrmmnt_small_blockdim_kernelILj64ELj64ELj2EliddddEEv20rocsparse_direction_T3_S2_llNS_24const_host_device_scalarIT7_EEPKT2_PKS2_PKT4_PKT5_llS5_PT6_ll16rocsparse_order_21rocsparse_index_base_b
    .private_segment_fixed_size: 0
    .sgpr_count:     26
    .sgpr_spill_count: 0
    .symbol:         _ZN9rocsparseL29bsrmmnt_small_blockdim_kernelILj64ELj64ELj2EliddddEEv20rocsparse_direction_T3_S2_llNS_24const_host_device_scalarIT7_EEPKT2_PKS2_PKT4_PKT5_llS5_PT6_ll16rocsparse_order_21rocsparse_index_base_b.kd
    .uniform_work_group_size: 1
    .uses_dynamic_stack: false
    .vgpr_count:     44
    .vgpr_spill_count: 0
    .wavefront_size: 32
    .workgroup_processor_mode: 1
  - .args:
      - .offset:         0
        .size:           4
        .value_kind:     by_value
      - .offset:         8
        .size:           8
        .value_kind:     by_value
      - .offset:         16
        .size:           8
        .value_kind:     by_value
      - .offset:         24
        .size:           8
        .value_kind:     by_value
      - .offset:         32
        .size:           8
        .value_kind:     by_value
      - .offset:         40
        .size:           8
        .value_kind:     by_value
      - .actual_access:  read_only
        .address_space:  global
        .offset:         48
        .size:           8
        .value_kind:     global_buffer
      - .actual_access:  read_only
        .address_space:  global
        .offset:         56
        .size:           8
        .value_kind:     global_buffer
      - .actual_access:  read_only
        .address_space:  global
        .offset:         64
        .size:           8
        .value_kind:     global_buffer
      - .actual_access:  read_only
        .address_space:  global
        .offset:         72
        .size:           8
        .value_kind:     global_buffer
      - .offset:         80
        .size:           8
        .value_kind:     by_value
      - .offset:         88
        .size:           8
        .value_kind:     by_value
      - .offset:         96
        .size:           8
        .value_kind:     by_value
      - .address_space:  global
        .offset:         104
        .size:           8
        .value_kind:     global_buffer
      - .offset:         112
        .size:           8
        .value_kind:     by_value
      - .offset:         120
        .size:           8
        .value_kind:     by_value
      - .offset:         128
        .size:           4
        .value_kind:     by_value
      - .offset:         132
        .size:           4
        .value_kind:     by_value
      - .offset:         136
        .size:           1
        .value_kind:     by_value
      - .offset:         144
        .size:           4
        .value_kind:     hidden_block_count_x
      - .offset:         148
        .size:           4
        .value_kind:     hidden_block_count_y
      - .offset:         152
        .size:           4
        .value_kind:     hidden_block_count_z
      - .offset:         156
        .size:           2
        .value_kind:     hidden_group_size_x
      - .offset:         158
        .size:           2
        .value_kind:     hidden_group_size_y
      - .offset:         160
        .size:           2
        .value_kind:     hidden_group_size_z
      - .offset:         162
        .size:           2
        .value_kind:     hidden_remainder_x
      - .offset:         164
        .size:           2
        .value_kind:     hidden_remainder_y
      - .offset:         166
        .size:           2
        .value_kind:     hidden_remainder_z
      - .offset:         184
        .size:           8
        .value_kind:     hidden_global_offset_x
      - .offset:         192
        .size:           8
        .value_kind:     hidden_global_offset_y
      - .offset:         200
        .size:           8
        .value_kind:     hidden_global_offset_z
      - .offset:         208
        .size:           2
        .value_kind:     hidden_grid_dims
    .group_segment_fixed_size: 2048
    .kernarg_segment_align: 8
    .kernarg_segment_size: 400
    .language:       OpenCL C
    .language_version:
      - 2
      - 0
    .max_flat_workgroup_size: 64
    .name:           _ZN9rocsparseL29bsrmmnt_small_blockdim_kernelILj64ELj8ELj2EllddddEEv20rocsparse_direction_T3_S2_llNS_24const_host_device_scalarIT7_EEPKT2_PKS2_PKT4_PKT5_llS5_PT6_ll16rocsparse_order_21rocsparse_index_base_b
    .private_segment_fixed_size: 0
    .sgpr_count:     28
    .sgpr_spill_count: 0
    .symbol:         _ZN9rocsparseL29bsrmmnt_small_blockdim_kernelILj64ELj8ELj2EllddddEEv20rocsparse_direction_T3_S2_llNS_24const_host_device_scalarIT7_EEPKT2_PKS2_PKT4_PKT5_llS5_PT6_ll16rocsparse_order_21rocsparse_index_base_b.kd
    .uniform_work_group_size: 1
    .uses_dynamic_stack: false
    .vgpr_count:     47
    .vgpr_spill_count: 0
    .wavefront_size: 32
    .workgroup_processor_mode: 1
  - .args:
      - .offset:         0
        .size:           4
        .value_kind:     by_value
      - .offset:         8
        .size:           8
        .value_kind:     by_value
      - .offset:         16
        .size:           8
        .value_kind:     by_value
      - .offset:         24
        .size:           8
        .value_kind:     by_value
      - .offset:         32
        .size:           8
        .value_kind:     by_value
      - .offset:         40
        .size:           8
        .value_kind:     by_value
      - .actual_access:  read_only
        .address_space:  global
        .offset:         48
        .size:           8
        .value_kind:     global_buffer
      - .actual_access:  read_only
        .address_space:  global
        .offset:         56
        .size:           8
        .value_kind:     global_buffer
      - .actual_access:  read_only
        .address_space:  global
        .offset:         64
        .size:           8
        .value_kind:     global_buffer
      - .actual_access:  read_only
        .address_space:  global
        .offset:         72
        .size:           8
        .value_kind:     global_buffer
      - .offset:         80
        .size:           8
        .value_kind:     by_value
      - .offset:         88
        .size:           8
        .value_kind:     by_value
      - .offset:         96
        .size:           8
        .value_kind:     by_value
      - .address_space:  global
        .offset:         104
        .size:           8
        .value_kind:     global_buffer
      - .offset:         112
        .size:           8
        .value_kind:     by_value
      - .offset:         120
        .size:           8
        .value_kind:     by_value
      - .offset:         128
        .size:           4
        .value_kind:     by_value
      - .offset:         132
        .size:           4
        .value_kind:     by_value
      - .offset:         136
        .size:           1
        .value_kind:     by_value
      - .offset:         144
        .size:           4
        .value_kind:     hidden_block_count_x
      - .offset:         148
        .size:           4
        .value_kind:     hidden_block_count_y
      - .offset:         152
        .size:           4
        .value_kind:     hidden_block_count_z
      - .offset:         156
        .size:           2
        .value_kind:     hidden_group_size_x
      - .offset:         158
        .size:           2
        .value_kind:     hidden_group_size_y
      - .offset:         160
        .size:           2
        .value_kind:     hidden_group_size_z
      - .offset:         162
        .size:           2
        .value_kind:     hidden_remainder_x
      - .offset:         164
        .size:           2
        .value_kind:     hidden_remainder_y
      - .offset:         166
        .size:           2
        .value_kind:     hidden_remainder_z
      - .offset:         184
        .size:           8
        .value_kind:     hidden_global_offset_x
      - .offset:         192
        .size:           8
        .value_kind:     hidden_global_offset_y
      - .offset:         200
        .size:           8
        .value_kind:     hidden_global_offset_z
      - .offset:         208
        .size:           2
        .value_kind:     hidden_grid_dims
    .group_segment_fixed_size: 2048
    .kernarg_segment_align: 8
    .kernarg_segment_size: 400
    .language:       OpenCL C
    .language_version:
      - 2
      - 0
    .max_flat_workgroup_size: 64
    .name:           _ZN9rocsparseL29bsrmmnt_small_blockdim_kernelILj64ELj16ELj2EllddddEEv20rocsparse_direction_T3_S2_llNS_24const_host_device_scalarIT7_EEPKT2_PKS2_PKT4_PKT5_llS5_PT6_ll16rocsparse_order_21rocsparse_index_base_b
    .private_segment_fixed_size: 0
    .sgpr_count:     28
    .sgpr_spill_count: 0
    .symbol:         _ZN9rocsparseL29bsrmmnt_small_blockdim_kernelILj64ELj16ELj2EllddddEEv20rocsparse_direction_T3_S2_llNS_24const_host_device_scalarIT7_EEPKT2_PKS2_PKT4_PKT5_llS5_PT6_ll16rocsparse_order_21rocsparse_index_base_b.kd
    .uniform_work_group_size: 1
    .uses_dynamic_stack: false
    .vgpr_count:     47
    .vgpr_spill_count: 0
    .wavefront_size: 32
    .workgroup_processor_mode: 1
  - .args:
      - .offset:         0
        .size:           4
        .value_kind:     by_value
      - .offset:         8
        .size:           8
        .value_kind:     by_value
      - .offset:         16
        .size:           8
        .value_kind:     by_value
      - .offset:         24
        .size:           8
        .value_kind:     by_value
      - .offset:         32
        .size:           8
        .value_kind:     by_value
      - .offset:         40
        .size:           8
        .value_kind:     by_value
      - .actual_access:  read_only
        .address_space:  global
        .offset:         48
        .size:           8
        .value_kind:     global_buffer
      - .actual_access:  read_only
        .address_space:  global
        .offset:         56
        .size:           8
        .value_kind:     global_buffer
      - .actual_access:  read_only
        .address_space:  global
        .offset:         64
        .size:           8
        .value_kind:     global_buffer
      - .actual_access:  read_only
        .address_space:  global
        .offset:         72
        .size:           8
        .value_kind:     global_buffer
      - .offset:         80
        .size:           8
        .value_kind:     by_value
      - .offset:         88
        .size:           8
        .value_kind:     by_value
      - .offset:         96
        .size:           8
        .value_kind:     by_value
      - .address_space:  global
        .offset:         104
        .size:           8
        .value_kind:     global_buffer
      - .offset:         112
        .size:           8
        .value_kind:     by_value
      - .offset:         120
        .size:           8
        .value_kind:     by_value
      - .offset:         128
        .size:           4
        .value_kind:     by_value
      - .offset:         132
        .size:           4
        .value_kind:     by_value
      - .offset:         136
        .size:           1
        .value_kind:     by_value
      - .offset:         144
        .size:           4
        .value_kind:     hidden_block_count_x
      - .offset:         148
        .size:           4
        .value_kind:     hidden_block_count_y
      - .offset:         152
        .size:           4
        .value_kind:     hidden_block_count_z
      - .offset:         156
        .size:           2
        .value_kind:     hidden_group_size_x
      - .offset:         158
        .size:           2
        .value_kind:     hidden_group_size_y
      - .offset:         160
        .size:           2
        .value_kind:     hidden_group_size_z
      - .offset:         162
        .size:           2
        .value_kind:     hidden_remainder_x
      - .offset:         164
        .size:           2
        .value_kind:     hidden_remainder_y
      - .offset:         166
        .size:           2
        .value_kind:     hidden_remainder_z
      - .offset:         184
        .size:           8
        .value_kind:     hidden_global_offset_x
      - .offset:         192
        .size:           8
        .value_kind:     hidden_global_offset_y
      - .offset:         200
        .size:           8
        .value_kind:     hidden_global_offset_z
      - .offset:         208
        .size:           2
        .value_kind:     hidden_grid_dims
    .group_segment_fixed_size: 2048
    .kernarg_segment_align: 8
    .kernarg_segment_size: 400
    .language:       OpenCL C
    .language_version:
      - 2
      - 0
    .max_flat_workgroup_size: 64
    .name:           _ZN9rocsparseL29bsrmmnt_small_blockdim_kernelILj64ELj32ELj2EllddddEEv20rocsparse_direction_T3_S2_llNS_24const_host_device_scalarIT7_EEPKT2_PKS2_PKT4_PKT5_llS5_PT6_ll16rocsparse_order_21rocsparse_index_base_b
    .private_segment_fixed_size: 0
    .sgpr_count:     28
    .sgpr_spill_count: 0
    .symbol:         _ZN9rocsparseL29bsrmmnt_small_blockdim_kernelILj64ELj32ELj2EllddddEEv20rocsparse_direction_T3_S2_llNS_24const_host_device_scalarIT7_EEPKT2_PKS2_PKT4_PKT5_llS5_PT6_ll16rocsparse_order_21rocsparse_index_base_b.kd
    .uniform_work_group_size: 1
    .uses_dynamic_stack: false
    .vgpr_count:     47
    .vgpr_spill_count: 0
    .wavefront_size: 32
    .workgroup_processor_mode: 1
  - .args:
      - .offset:         0
        .size:           4
        .value_kind:     by_value
      - .offset:         8
        .size:           8
        .value_kind:     by_value
      - .offset:         16
        .size:           8
        .value_kind:     by_value
      - .offset:         24
        .size:           8
        .value_kind:     by_value
      - .offset:         32
        .size:           8
        .value_kind:     by_value
      - .offset:         40
        .size:           8
        .value_kind:     by_value
      - .actual_access:  read_only
        .address_space:  global
        .offset:         48
        .size:           8
        .value_kind:     global_buffer
      - .actual_access:  read_only
        .address_space:  global
        .offset:         56
        .size:           8
        .value_kind:     global_buffer
      - .actual_access:  read_only
        .address_space:  global
        .offset:         64
        .size:           8
        .value_kind:     global_buffer
      - .actual_access:  read_only
        .address_space:  global
        .offset:         72
        .size:           8
        .value_kind:     global_buffer
      - .offset:         80
        .size:           8
        .value_kind:     by_value
      - .offset:         88
        .size:           8
        .value_kind:     by_value
      - .offset:         96
        .size:           8
        .value_kind:     by_value
      - .address_space:  global
        .offset:         104
        .size:           8
        .value_kind:     global_buffer
      - .offset:         112
        .size:           8
        .value_kind:     by_value
      - .offset:         120
        .size:           8
        .value_kind:     by_value
      - .offset:         128
        .size:           4
        .value_kind:     by_value
      - .offset:         132
        .size:           4
        .value_kind:     by_value
      - .offset:         136
        .size:           1
        .value_kind:     by_value
      - .offset:         144
        .size:           4
        .value_kind:     hidden_block_count_x
      - .offset:         148
        .size:           4
        .value_kind:     hidden_block_count_y
      - .offset:         152
        .size:           4
        .value_kind:     hidden_block_count_z
      - .offset:         156
        .size:           2
        .value_kind:     hidden_group_size_x
      - .offset:         158
        .size:           2
        .value_kind:     hidden_group_size_y
      - .offset:         160
        .size:           2
        .value_kind:     hidden_group_size_z
      - .offset:         162
        .size:           2
        .value_kind:     hidden_remainder_x
      - .offset:         164
        .size:           2
        .value_kind:     hidden_remainder_y
      - .offset:         166
        .size:           2
        .value_kind:     hidden_remainder_z
      - .offset:         184
        .size:           8
        .value_kind:     hidden_global_offset_x
      - .offset:         192
        .size:           8
        .value_kind:     hidden_global_offset_y
      - .offset:         200
        .size:           8
        .value_kind:     hidden_global_offset_z
      - .offset:         208
        .size:           2
        .value_kind:     hidden_grid_dims
    .group_segment_fixed_size: 2048
    .kernarg_segment_align: 8
    .kernarg_segment_size: 400
    .language:       OpenCL C
    .language_version:
      - 2
      - 0
    .max_flat_workgroup_size: 64
    .name:           _ZN9rocsparseL29bsrmmnt_small_blockdim_kernelILj64ELj64ELj2EllddddEEv20rocsparse_direction_T3_S2_llNS_24const_host_device_scalarIT7_EEPKT2_PKS2_PKT4_PKT5_llS5_PT6_ll16rocsparse_order_21rocsparse_index_base_b
    .private_segment_fixed_size: 0
    .sgpr_count:     28
    .sgpr_spill_count: 0
    .symbol:         _ZN9rocsparseL29bsrmmnt_small_blockdim_kernelILj64ELj64ELj2EllddddEEv20rocsparse_direction_T3_S2_llNS_24const_host_device_scalarIT7_EEPKT2_PKS2_PKT4_PKT5_llS5_PT6_ll16rocsparse_order_21rocsparse_index_base_b.kd
    .uniform_work_group_size: 1
    .uses_dynamic_stack: false
    .vgpr_count:     45
    .vgpr_spill_count: 0
    .wavefront_size: 32
    .workgroup_processor_mode: 1
  - .args:
      - .offset:         0
        .size:           4
        .value_kind:     by_value
      - .offset:         4
        .size:           4
        .value_kind:     by_value
      - .offset:         8
        .size:           4
        .value_kind:     by_value
      - .offset:         16
        .size:           8
        .value_kind:     by_value
      - .offset:         24
        .size:           8
        .value_kind:     by_value
      - .offset:         32
        .size:           8
        .value_kind:     by_value
      - .actual_access:  read_only
        .address_space:  global
        .offset:         40
        .size:           8
        .value_kind:     global_buffer
      - .actual_access:  read_only
        .address_space:  global
        .offset:         48
        .size:           8
        .value_kind:     global_buffer
      - .actual_access:  read_only
        .address_space:  global
        .offset:         56
        .size:           8
        .value_kind:     global_buffer
      - .actual_access:  read_only
        .address_space:  global
        .offset:         64
        .size:           8
        .value_kind:     global_buffer
      - .offset:         72
        .size:           8
        .value_kind:     by_value
      - .offset:         80
        .size:           8
        .value_kind:     by_value
      - .offset:         88
        .size:           8
        .value_kind:     by_value
      - .address_space:  global
        .offset:         96
        .size:           8
        .value_kind:     global_buffer
      - .offset:         104
        .size:           8
        .value_kind:     by_value
      - .offset:         112
        .size:           8
        .value_kind:     by_value
      - .offset:         120
        .size:           4
        .value_kind:     by_value
      - .offset:         124
        .size:           4
        .value_kind:     by_value
      - .offset:         128
        .size:           1
        .value_kind:     by_value
      - .offset:         136
        .size:           4
        .value_kind:     hidden_block_count_x
      - .offset:         140
        .size:           4
        .value_kind:     hidden_block_count_y
      - .offset:         144
        .size:           4
        .value_kind:     hidden_block_count_z
      - .offset:         148
        .size:           2
        .value_kind:     hidden_group_size_x
      - .offset:         150
        .size:           2
        .value_kind:     hidden_group_size_y
      - .offset:         152
        .size:           2
        .value_kind:     hidden_group_size_z
      - .offset:         154
        .size:           2
        .value_kind:     hidden_remainder_x
      - .offset:         156
        .size:           2
        .value_kind:     hidden_remainder_y
      - .offset:         158
        .size:           2
        .value_kind:     hidden_remainder_z
      - .offset:         176
        .size:           8
        .value_kind:     hidden_global_offset_x
      - .offset:         184
        .size:           8
        .value_kind:     hidden_global_offset_y
      - .offset:         192
        .size:           8
        .value_kind:     hidden_global_offset_z
      - .offset:         200
        .size:           2
        .value_kind:     hidden_grid_dims
    .group_segment_fixed_size: 1792
    .kernarg_segment_align: 8
    .kernarg_segment_size: 392
    .language:       OpenCL C
    .language_version:
      - 2
      - 0
    .max_flat_workgroup_size: 64
    .name:           _ZN9rocsparseL29bsrmmnt_small_blockdim_kernelILj64ELj8ELj2Eii21rocsparse_complex_numIfES2_S2_S2_EEv20rocsparse_direction_T3_S4_llNS_24const_host_device_scalarIT7_EEPKT2_PKS4_PKT4_PKT5_llS7_PT6_ll16rocsparse_order_21rocsparse_index_base_b
    .private_segment_fixed_size: 0
    .sgpr_count:     26
    .sgpr_spill_count: 0
    .symbol:         _ZN9rocsparseL29bsrmmnt_small_blockdim_kernelILj64ELj8ELj2Eii21rocsparse_complex_numIfES2_S2_S2_EEv20rocsparse_direction_T3_S4_llNS_24const_host_device_scalarIT7_EEPKT2_PKS4_PKT4_PKT5_llS7_PT6_ll16rocsparse_order_21rocsparse_index_base_b.kd
    .uniform_work_group_size: 1
    .uses_dynamic_stack: false
    .vgpr_count:     42
    .vgpr_spill_count: 0
    .wavefront_size: 32
    .workgroup_processor_mode: 1
  - .args:
      - .offset:         0
        .size:           4
        .value_kind:     by_value
      - .offset:         4
        .size:           4
        .value_kind:     by_value
      - .offset:         8
        .size:           4
        .value_kind:     by_value
      - .offset:         16
        .size:           8
        .value_kind:     by_value
      - .offset:         24
        .size:           8
        .value_kind:     by_value
      - .offset:         32
        .size:           8
        .value_kind:     by_value
      - .actual_access:  read_only
        .address_space:  global
        .offset:         40
        .size:           8
        .value_kind:     global_buffer
      - .actual_access:  read_only
        .address_space:  global
        .offset:         48
        .size:           8
        .value_kind:     global_buffer
      - .actual_access:  read_only
        .address_space:  global
        .offset:         56
        .size:           8
        .value_kind:     global_buffer
      - .actual_access:  read_only
        .address_space:  global
        .offset:         64
        .size:           8
        .value_kind:     global_buffer
      - .offset:         72
        .size:           8
        .value_kind:     by_value
      - .offset:         80
        .size:           8
        .value_kind:     by_value
      - .offset:         88
        .size:           8
        .value_kind:     by_value
      - .address_space:  global
        .offset:         96
        .size:           8
        .value_kind:     global_buffer
      - .offset:         104
        .size:           8
        .value_kind:     by_value
      - .offset:         112
        .size:           8
        .value_kind:     by_value
      - .offset:         120
        .size:           4
        .value_kind:     by_value
      - .offset:         124
        .size:           4
        .value_kind:     by_value
      - .offset:         128
        .size:           1
        .value_kind:     by_value
      - .offset:         136
        .size:           4
        .value_kind:     hidden_block_count_x
      - .offset:         140
        .size:           4
        .value_kind:     hidden_block_count_y
      - .offset:         144
        .size:           4
        .value_kind:     hidden_block_count_z
      - .offset:         148
        .size:           2
        .value_kind:     hidden_group_size_x
      - .offset:         150
        .size:           2
        .value_kind:     hidden_group_size_y
      - .offset:         152
        .size:           2
        .value_kind:     hidden_group_size_z
      - .offset:         154
        .size:           2
        .value_kind:     hidden_remainder_x
      - .offset:         156
        .size:           2
        .value_kind:     hidden_remainder_y
      - .offset:         158
        .size:           2
        .value_kind:     hidden_remainder_z
      - .offset:         176
        .size:           8
        .value_kind:     hidden_global_offset_x
      - .offset:         184
        .size:           8
        .value_kind:     hidden_global_offset_y
      - .offset:         192
        .size:           8
        .value_kind:     hidden_global_offset_z
      - .offset:         200
        .size:           2
        .value_kind:     hidden_grid_dims
    .group_segment_fixed_size: 1792
    .kernarg_segment_align: 8
    .kernarg_segment_size: 392
    .language:       OpenCL C
    .language_version:
      - 2
      - 0
    .max_flat_workgroup_size: 64
    .name:           _ZN9rocsparseL29bsrmmnt_small_blockdim_kernelILj64ELj16ELj2Eii21rocsparse_complex_numIfES2_S2_S2_EEv20rocsparse_direction_T3_S4_llNS_24const_host_device_scalarIT7_EEPKT2_PKS4_PKT4_PKT5_llS7_PT6_ll16rocsparse_order_21rocsparse_index_base_b
    .private_segment_fixed_size: 0
    .sgpr_count:     26
    .sgpr_spill_count: 0
    .symbol:         _ZN9rocsparseL29bsrmmnt_small_blockdim_kernelILj64ELj16ELj2Eii21rocsparse_complex_numIfES2_S2_S2_EEv20rocsparse_direction_T3_S4_llNS_24const_host_device_scalarIT7_EEPKT2_PKS4_PKT4_PKT5_llS7_PT6_ll16rocsparse_order_21rocsparse_index_base_b.kd
    .uniform_work_group_size: 1
    .uses_dynamic_stack: false
    .vgpr_count:     42
    .vgpr_spill_count: 0
    .wavefront_size: 32
    .workgroup_processor_mode: 1
  - .args:
      - .offset:         0
        .size:           4
        .value_kind:     by_value
      - .offset:         4
        .size:           4
        .value_kind:     by_value
      - .offset:         8
        .size:           4
        .value_kind:     by_value
      - .offset:         16
        .size:           8
        .value_kind:     by_value
      - .offset:         24
        .size:           8
        .value_kind:     by_value
      - .offset:         32
        .size:           8
        .value_kind:     by_value
      - .actual_access:  read_only
        .address_space:  global
        .offset:         40
        .size:           8
        .value_kind:     global_buffer
      - .actual_access:  read_only
        .address_space:  global
        .offset:         48
        .size:           8
        .value_kind:     global_buffer
      - .actual_access:  read_only
        .address_space:  global
        .offset:         56
        .size:           8
        .value_kind:     global_buffer
      - .actual_access:  read_only
        .address_space:  global
        .offset:         64
        .size:           8
        .value_kind:     global_buffer
      - .offset:         72
        .size:           8
        .value_kind:     by_value
      - .offset:         80
        .size:           8
        .value_kind:     by_value
      - .offset:         88
        .size:           8
        .value_kind:     by_value
      - .address_space:  global
        .offset:         96
        .size:           8
        .value_kind:     global_buffer
      - .offset:         104
        .size:           8
        .value_kind:     by_value
      - .offset:         112
        .size:           8
        .value_kind:     by_value
      - .offset:         120
        .size:           4
        .value_kind:     by_value
      - .offset:         124
        .size:           4
        .value_kind:     by_value
      - .offset:         128
        .size:           1
        .value_kind:     by_value
      - .offset:         136
        .size:           4
        .value_kind:     hidden_block_count_x
      - .offset:         140
        .size:           4
        .value_kind:     hidden_block_count_y
      - .offset:         144
        .size:           4
        .value_kind:     hidden_block_count_z
      - .offset:         148
        .size:           2
        .value_kind:     hidden_group_size_x
      - .offset:         150
        .size:           2
        .value_kind:     hidden_group_size_y
      - .offset:         152
        .size:           2
        .value_kind:     hidden_group_size_z
      - .offset:         154
        .size:           2
        .value_kind:     hidden_remainder_x
      - .offset:         156
        .size:           2
        .value_kind:     hidden_remainder_y
      - .offset:         158
        .size:           2
        .value_kind:     hidden_remainder_z
      - .offset:         176
        .size:           8
        .value_kind:     hidden_global_offset_x
      - .offset:         184
        .size:           8
        .value_kind:     hidden_global_offset_y
      - .offset:         192
        .size:           8
        .value_kind:     hidden_global_offset_z
      - .offset:         200
        .size:           2
        .value_kind:     hidden_grid_dims
    .group_segment_fixed_size: 1792
    .kernarg_segment_align: 8
    .kernarg_segment_size: 392
    .language:       OpenCL C
    .language_version:
      - 2
      - 0
    .max_flat_workgroup_size: 64
    .name:           _ZN9rocsparseL29bsrmmnt_small_blockdim_kernelILj64ELj32ELj2Eii21rocsparse_complex_numIfES2_S2_S2_EEv20rocsparse_direction_T3_S4_llNS_24const_host_device_scalarIT7_EEPKT2_PKS4_PKT4_PKT5_llS7_PT6_ll16rocsparse_order_21rocsparse_index_base_b
    .private_segment_fixed_size: 0
    .sgpr_count:     26
    .sgpr_spill_count: 0
    .symbol:         _ZN9rocsparseL29bsrmmnt_small_blockdim_kernelILj64ELj32ELj2Eii21rocsparse_complex_numIfES2_S2_S2_EEv20rocsparse_direction_T3_S4_llNS_24const_host_device_scalarIT7_EEPKT2_PKS4_PKT4_PKT5_llS7_PT6_ll16rocsparse_order_21rocsparse_index_base_b.kd
    .uniform_work_group_size: 1
    .uses_dynamic_stack: false
    .vgpr_count:     42
    .vgpr_spill_count: 0
    .wavefront_size: 32
    .workgroup_processor_mode: 1
  - .args:
      - .offset:         0
        .size:           4
        .value_kind:     by_value
      - .offset:         4
        .size:           4
        .value_kind:     by_value
      - .offset:         8
        .size:           4
        .value_kind:     by_value
      - .offset:         16
        .size:           8
        .value_kind:     by_value
      - .offset:         24
        .size:           8
        .value_kind:     by_value
      - .offset:         32
        .size:           8
        .value_kind:     by_value
      - .actual_access:  read_only
        .address_space:  global
        .offset:         40
        .size:           8
        .value_kind:     global_buffer
      - .actual_access:  read_only
        .address_space:  global
        .offset:         48
        .size:           8
        .value_kind:     global_buffer
      - .actual_access:  read_only
        .address_space:  global
        .offset:         56
        .size:           8
        .value_kind:     global_buffer
      - .actual_access:  read_only
        .address_space:  global
        .offset:         64
        .size:           8
        .value_kind:     global_buffer
      - .offset:         72
        .size:           8
        .value_kind:     by_value
      - .offset:         80
        .size:           8
        .value_kind:     by_value
      - .offset:         88
        .size:           8
        .value_kind:     by_value
      - .address_space:  global
        .offset:         96
        .size:           8
        .value_kind:     global_buffer
      - .offset:         104
        .size:           8
        .value_kind:     by_value
      - .offset:         112
        .size:           8
        .value_kind:     by_value
      - .offset:         120
        .size:           4
        .value_kind:     by_value
      - .offset:         124
        .size:           4
        .value_kind:     by_value
      - .offset:         128
        .size:           1
        .value_kind:     by_value
      - .offset:         136
        .size:           4
        .value_kind:     hidden_block_count_x
      - .offset:         140
        .size:           4
        .value_kind:     hidden_block_count_y
      - .offset:         144
        .size:           4
        .value_kind:     hidden_block_count_z
      - .offset:         148
        .size:           2
        .value_kind:     hidden_group_size_x
      - .offset:         150
        .size:           2
        .value_kind:     hidden_group_size_y
      - .offset:         152
        .size:           2
        .value_kind:     hidden_group_size_z
      - .offset:         154
        .size:           2
        .value_kind:     hidden_remainder_x
      - .offset:         156
        .size:           2
        .value_kind:     hidden_remainder_y
      - .offset:         158
        .size:           2
        .value_kind:     hidden_remainder_z
      - .offset:         176
        .size:           8
        .value_kind:     hidden_global_offset_x
      - .offset:         184
        .size:           8
        .value_kind:     hidden_global_offset_y
      - .offset:         192
        .size:           8
        .value_kind:     hidden_global_offset_z
      - .offset:         200
        .size:           2
        .value_kind:     hidden_grid_dims
    .group_segment_fixed_size: 1792
    .kernarg_segment_align: 8
    .kernarg_segment_size: 392
    .language:       OpenCL C
    .language_version:
      - 2
      - 0
    .max_flat_workgroup_size: 64
    .name:           _ZN9rocsparseL29bsrmmnt_small_blockdim_kernelILj64ELj64ELj2Eii21rocsparse_complex_numIfES2_S2_S2_EEv20rocsparse_direction_T3_S4_llNS_24const_host_device_scalarIT7_EEPKT2_PKS4_PKT4_PKT5_llS7_PT6_ll16rocsparse_order_21rocsparse_index_base_b
    .private_segment_fixed_size: 0
    .sgpr_count:     26
    .sgpr_spill_count: 0
    .symbol:         _ZN9rocsparseL29bsrmmnt_small_blockdim_kernelILj64ELj64ELj2Eii21rocsparse_complex_numIfES2_S2_S2_EEv20rocsparse_direction_T3_S4_llNS_24const_host_device_scalarIT7_EEPKT2_PKS4_PKT4_PKT5_llS7_PT6_ll16rocsparse_order_21rocsparse_index_base_b.kd
    .uniform_work_group_size: 1
    .uses_dynamic_stack: false
    .vgpr_count:     40
    .vgpr_spill_count: 0
    .wavefront_size: 32
    .workgroup_processor_mode: 1
  - .args:
      - .offset:         0
        .size:           4
        .value_kind:     by_value
      - .offset:         4
        .size:           4
        .value_kind:     by_value
      - .offset:         8
        .size:           4
        .value_kind:     by_value
      - .offset:         16
        .size:           8
        .value_kind:     by_value
      - .offset:         24
        .size:           8
        .value_kind:     by_value
      - .offset:         32
        .size:           8
        .value_kind:     by_value
      - .actual_access:  read_only
        .address_space:  global
        .offset:         40
        .size:           8
        .value_kind:     global_buffer
      - .actual_access:  read_only
        .address_space:  global
        .offset:         48
        .size:           8
        .value_kind:     global_buffer
      - .actual_access:  read_only
        .address_space:  global
        .offset:         56
        .size:           8
        .value_kind:     global_buffer
      - .actual_access:  read_only
        .address_space:  global
        .offset:         64
        .size:           8
        .value_kind:     global_buffer
      - .offset:         72
        .size:           8
        .value_kind:     by_value
      - .offset:         80
        .size:           8
        .value_kind:     by_value
      - .offset:         88
        .size:           8
        .value_kind:     by_value
      - .address_space:  global
        .offset:         96
        .size:           8
        .value_kind:     global_buffer
      - .offset:         104
        .size:           8
        .value_kind:     by_value
      - .offset:         112
        .size:           8
        .value_kind:     by_value
      - .offset:         120
        .size:           4
        .value_kind:     by_value
      - .offset:         124
        .size:           4
        .value_kind:     by_value
      - .offset:         128
        .size:           1
        .value_kind:     by_value
      - .offset:         136
        .size:           4
        .value_kind:     hidden_block_count_x
      - .offset:         140
        .size:           4
        .value_kind:     hidden_block_count_y
      - .offset:         144
        .size:           4
        .value_kind:     hidden_block_count_z
      - .offset:         148
        .size:           2
        .value_kind:     hidden_group_size_x
      - .offset:         150
        .size:           2
        .value_kind:     hidden_group_size_y
      - .offset:         152
        .size:           2
        .value_kind:     hidden_group_size_z
      - .offset:         154
        .size:           2
        .value_kind:     hidden_remainder_x
      - .offset:         156
        .size:           2
        .value_kind:     hidden_remainder_y
      - .offset:         158
        .size:           2
        .value_kind:     hidden_remainder_z
      - .offset:         176
        .size:           8
        .value_kind:     hidden_global_offset_x
      - .offset:         184
        .size:           8
        .value_kind:     hidden_global_offset_y
      - .offset:         192
        .size:           8
        .value_kind:     hidden_global_offset_z
      - .offset:         200
        .size:           2
        .value_kind:     hidden_grid_dims
    .group_segment_fixed_size: 1792
    .kernarg_segment_align: 8
    .kernarg_segment_size: 392
    .language:       OpenCL C
    .language_version:
      - 2
      - 0
    .max_flat_workgroup_size: 64
    .name:           _ZN9rocsparseL29bsrmmnt_small_blockdim_kernelILj64ELj8ELj2Eli21rocsparse_complex_numIfES2_S2_S2_EEv20rocsparse_direction_T3_S4_llNS_24const_host_device_scalarIT7_EEPKT2_PKS4_PKT4_PKT5_llS7_PT6_ll16rocsparse_order_21rocsparse_index_base_b
    .private_segment_fixed_size: 0
    .sgpr_count:     26
    .sgpr_spill_count: 0
    .symbol:         _ZN9rocsparseL29bsrmmnt_small_blockdim_kernelILj64ELj8ELj2Eli21rocsparse_complex_numIfES2_S2_S2_EEv20rocsparse_direction_T3_S4_llNS_24const_host_device_scalarIT7_EEPKT2_PKS4_PKT4_PKT5_llS7_PT6_ll16rocsparse_order_21rocsparse_index_base_b.kd
    .uniform_work_group_size: 1
    .uses_dynamic_stack: false
    .vgpr_count:     45
    .vgpr_spill_count: 0
    .wavefront_size: 32
    .workgroup_processor_mode: 1
  - .args:
      - .offset:         0
        .size:           4
        .value_kind:     by_value
      - .offset:         4
        .size:           4
        .value_kind:     by_value
      - .offset:         8
        .size:           4
        .value_kind:     by_value
      - .offset:         16
        .size:           8
        .value_kind:     by_value
      - .offset:         24
        .size:           8
        .value_kind:     by_value
      - .offset:         32
        .size:           8
        .value_kind:     by_value
      - .actual_access:  read_only
        .address_space:  global
        .offset:         40
        .size:           8
        .value_kind:     global_buffer
      - .actual_access:  read_only
        .address_space:  global
        .offset:         48
        .size:           8
        .value_kind:     global_buffer
      - .actual_access:  read_only
        .address_space:  global
        .offset:         56
        .size:           8
        .value_kind:     global_buffer
      - .actual_access:  read_only
        .address_space:  global
        .offset:         64
        .size:           8
        .value_kind:     global_buffer
      - .offset:         72
        .size:           8
        .value_kind:     by_value
      - .offset:         80
        .size:           8
        .value_kind:     by_value
      - .offset:         88
        .size:           8
        .value_kind:     by_value
      - .address_space:  global
        .offset:         96
        .size:           8
        .value_kind:     global_buffer
      - .offset:         104
        .size:           8
        .value_kind:     by_value
      - .offset:         112
        .size:           8
        .value_kind:     by_value
      - .offset:         120
        .size:           4
        .value_kind:     by_value
      - .offset:         124
        .size:           4
        .value_kind:     by_value
      - .offset:         128
        .size:           1
        .value_kind:     by_value
      - .offset:         136
        .size:           4
        .value_kind:     hidden_block_count_x
      - .offset:         140
        .size:           4
        .value_kind:     hidden_block_count_y
      - .offset:         144
        .size:           4
        .value_kind:     hidden_block_count_z
      - .offset:         148
        .size:           2
        .value_kind:     hidden_group_size_x
      - .offset:         150
        .size:           2
        .value_kind:     hidden_group_size_y
      - .offset:         152
        .size:           2
        .value_kind:     hidden_group_size_z
      - .offset:         154
        .size:           2
        .value_kind:     hidden_remainder_x
      - .offset:         156
        .size:           2
        .value_kind:     hidden_remainder_y
      - .offset:         158
        .size:           2
        .value_kind:     hidden_remainder_z
      - .offset:         176
        .size:           8
        .value_kind:     hidden_global_offset_x
      - .offset:         184
        .size:           8
        .value_kind:     hidden_global_offset_y
      - .offset:         192
        .size:           8
        .value_kind:     hidden_global_offset_z
      - .offset:         200
        .size:           2
        .value_kind:     hidden_grid_dims
    .group_segment_fixed_size: 1792
    .kernarg_segment_align: 8
    .kernarg_segment_size: 392
    .language:       OpenCL C
    .language_version:
      - 2
      - 0
    .max_flat_workgroup_size: 64
    .name:           _ZN9rocsparseL29bsrmmnt_small_blockdim_kernelILj64ELj16ELj2Eli21rocsparse_complex_numIfES2_S2_S2_EEv20rocsparse_direction_T3_S4_llNS_24const_host_device_scalarIT7_EEPKT2_PKS4_PKT4_PKT5_llS7_PT6_ll16rocsparse_order_21rocsparse_index_base_b
    .private_segment_fixed_size: 0
    .sgpr_count:     26
    .sgpr_spill_count: 0
    .symbol:         _ZN9rocsparseL29bsrmmnt_small_blockdim_kernelILj64ELj16ELj2Eli21rocsparse_complex_numIfES2_S2_S2_EEv20rocsparse_direction_T3_S4_llNS_24const_host_device_scalarIT7_EEPKT2_PKS4_PKT4_PKT5_llS7_PT6_ll16rocsparse_order_21rocsparse_index_base_b.kd
    .uniform_work_group_size: 1
    .uses_dynamic_stack: false
    .vgpr_count:     45
    .vgpr_spill_count: 0
    .wavefront_size: 32
    .workgroup_processor_mode: 1
  - .args:
      - .offset:         0
        .size:           4
        .value_kind:     by_value
      - .offset:         4
        .size:           4
        .value_kind:     by_value
      - .offset:         8
        .size:           4
        .value_kind:     by_value
      - .offset:         16
        .size:           8
        .value_kind:     by_value
      - .offset:         24
        .size:           8
        .value_kind:     by_value
      - .offset:         32
        .size:           8
        .value_kind:     by_value
      - .actual_access:  read_only
        .address_space:  global
        .offset:         40
        .size:           8
        .value_kind:     global_buffer
      - .actual_access:  read_only
        .address_space:  global
        .offset:         48
        .size:           8
        .value_kind:     global_buffer
      - .actual_access:  read_only
        .address_space:  global
        .offset:         56
        .size:           8
        .value_kind:     global_buffer
      - .actual_access:  read_only
        .address_space:  global
        .offset:         64
        .size:           8
        .value_kind:     global_buffer
      - .offset:         72
        .size:           8
        .value_kind:     by_value
      - .offset:         80
        .size:           8
        .value_kind:     by_value
      - .offset:         88
        .size:           8
        .value_kind:     by_value
      - .address_space:  global
        .offset:         96
        .size:           8
        .value_kind:     global_buffer
      - .offset:         104
        .size:           8
        .value_kind:     by_value
      - .offset:         112
        .size:           8
        .value_kind:     by_value
      - .offset:         120
        .size:           4
        .value_kind:     by_value
      - .offset:         124
        .size:           4
        .value_kind:     by_value
      - .offset:         128
        .size:           1
        .value_kind:     by_value
      - .offset:         136
        .size:           4
        .value_kind:     hidden_block_count_x
      - .offset:         140
        .size:           4
        .value_kind:     hidden_block_count_y
      - .offset:         144
        .size:           4
        .value_kind:     hidden_block_count_z
      - .offset:         148
        .size:           2
        .value_kind:     hidden_group_size_x
      - .offset:         150
        .size:           2
        .value_kind:     hidden_group_size_y
      - .offset:         152
        .size:           2
        .value_kind:     hidden_group_size_z
      - .offset:         154
        .size:           2
        .value_kind:     hidden_remainder_x
      - .offset:         156
        .size:           2
        .value_kind:     hidden_remainder_y
      - .offset:         158
        .size:           2
        .value_kind:     hidden_remainder_z
      - .offset:         176
        .size:           8
        .value_kind:     hidden_global_offset_x
      - .offset:         184
        .size:           8
        .value_kind:     hidden_global_offset_y
      - .offset:         192
        .size:           8
        .value_kind:     hidden_global_offset_z
      - .offset:         200
        .size:           2
        .value_kind:     hidden_grid_dims
    .group_segment_fixed_size: 1792
    .kernarg_segment_align: 8
    .kernarg_segment_size: 392
    .language:       OpenCL C
    .language_version:
      - 2
      - 0
    .max_flat_workgroup_size: 64
    .name:           _ZN9rocsparseL29bsrmmnt_small_blockdim_kernelILj64ELj32ELj2Eli21rocsparse_complex_numIfES2_S2_S2_EEv20rocsparse_direction_T3_S4_llNS_24const_host_device_scalarIT7_EEPKT2_PKS4_PKT4_PKT5_llS7_PT6_ll16rocsparse_order_21rocsparse_index_base_b
    .private_segment_fixed_size: 0
    .sgpr_count:     26
    .sgpr_spill_count: 0
    .symbol:         _ZN9rocsparseL29bsrmmnt_small_blockdim_kernelILj64ELj32ELj2Eli21rocsparse_complex_numIfES2_S2_S2_EEv20rocsparse_direction_T3_S4_llNS_24const_host_device_scalarIT7_EEPKT2_PKS4_PKT4_PKT5_llS7_PT6_ll16rocsparse_order_21rocsparse_index_base_b.kd
    .uniform_work_group_size: 1
    .uses_dynamic_stack: false
    .vgpr_count:     45
    .vgpr_spill_count: 0
    .wavefront_size: 32
    .workgroup_processor_mode: 1
  - .args:
      - .offset:         0
        .size:           4
        .value_kind:     by_value
      - .offset:         4
        .size:           4
        .value_kind:     by_value
      - .offset:         8
        .size:           4
        .value_kind:     by_value
      - .offset:         16
        .size:           8
        .value_kind:     by_value
      - .offset:         24
        .size:           8
        .value_kind:     by_value
      - .offset:         32
        .size:           8
        .value_kind:     by_value
      - .actual_access:  read_only
        .address_space:  global
        .offset:         40
        .size:           8
        .value_kind:     global_buffer
      - .actual_access:  read_only
        .address_space:  global
        .offset:         48
        .size:           8
        .value_kind:     global_buffer
      - .actual_access:  read_only
        .address_space:  global
        .offset:         56
        .size:           8
        .value_kind:     global_buffer
      - .actual_access:  read_only
        .address_space:  global
        .offset:         64
        .size:           8
        .value_kind:     global_buffer
      - .offset:         72
        .size:           8
        .value_kind:     by_value
      - .offset:         80
        .size:           8
        .value_kind:     by_value
      - .offset:         88
        .size:           8
        .value_kind:     by_value
      - .address_space:  global
        .offset:         96
        .size:           8
        .value_kind:     global_buffer
      - .offset:         104
        .size:           8
        .value_kind:     by_value
      - .offset:         112
        .size:           8
        .value_kind:     by_value
      - .offset:         120
        .size:           4
        .value_kind:     by_value
      - .offset:         124
        .size:           4
        .value_kind:     by_value
      - .offset:         128
        .size:           1
        .value_kind:     by_value
      - .offset:         136
        .size:           4
        .value_kind:     hidden_block_count_x
      - .offset:         140
        .size:           4
        .value_kind:     hidden_block_count_y
      - .offset:         144
        .size:           4
        .value_kind:     hidden_block_count_z
      - .offset:         148
        .size:           2
        .value_kind:     hidden_group_size_x
      - .offset:         150
        .size:           2
        .value_kind:     hidden_group_size_y
      - .offset:         152
        .size:           2
        .value_kind:     hidden_group_size_z
      - .offset:         154
        .size:           2
        .value_kind:     hidden_remainder_x
      - .offset:         156
        .size:           2
        .value_kind:     hidden_remainder_y
      - .offset:         158
        .size:           2
        .value_kind:     hidden_remainder_z
      - .offset:         176
        .size:           8
        .value_kind:     hidden_global_offset_x
      - .offset:         184
        .size:           8
        .value_kind:     hidden_global_offset_y
      - .offset:         192
        .size:           8
        .value_kind:     hidden_global_offset_z
      - .offset:         200
        .size:           2
        .value_kind:     hidden_grid_dims
    .group_segment_fixed_size: 1792
    .kernarg_segment_align: 8
    .kernarg_segment_size: 392
    .language:       OpenCL C
    .language_version:
      - 2
      - 0
    .max_flat_workgroup_size: 64
    .name:           _ZN9rocsparseL29bsrmmnt_small_blockdim_kernelILj64ELj64ELj2Eli21rocsparse_complex_numIfES2_S2_S2_EEv20rocsparse_direction_T3_S4_llNS_24const_host_device_scalarIT7_EEPKT2_PKS4_PKT4_PKT5_llS7_PT6_ll16rocsparse_order_21rocsparse_index_base_b
    .private_segment_fixed_size: 0
    .sgpr_count:     26
    .sgpr_spill_count: 0
    .symbol:         _ZN9rocsparseL29bsrmmnt_small_blockdim_kernelILj64ELj64ELj2Eli21rocsparse_complex_numIfES2_S2_S2_EEv20rocsparse_direction_T3_S4_llNS_24const_host_device_scalarIT7_EEPKT2_PKS4_PKT4_PKT5_llS7_PT6_ll16rocsparse_order_21rocsparse_index_base_b.kd
    .uniform_work_group_size: 1
    .uses_dynamic_stack: false
    .vgpr_count:     43
    .vgpr_spill_count: 0
    .wavefront_size: 32
    .workgroup_processor_mode: 1
  - .args:
      - .offset:         0
        .size:           4
        .value_kind:     by_value
      - .offset:         8
        .size:           8
        .value_kind:     by_value
      - .offset:         16
        .size:           8
        .value_kind:     by_value
      - .offset:         24
        .size:           8
        .value_kind:     by_value
      - .offset:         32
        .size:           8
        .value_kind:     by_value
      - .offset:         40
        .size:           8
        .value_kind:     by_value
      - .actual_access:  read_only
        .address_space:  global
        .offset:         48
        .size:           8
        .value_kind:     global_buffer
      - .actual_access:  read_only
        .address_space:  global
        .offset:         56
        .size:           8
        .value_kind:     global_buffer
      - .actual_access:  read_only
        .address_space:  global
        .offset:         64
        .size:           8
        .value_kind:     global_buffer
      - .actual_access:  read_only
        .address_space:  global
        .offset:         72
        .size:           8
        .value_kind:     global_buffer
      - .offset:         80
        .size:           8
        .value_kind:     by_value
      - .offset:         88
        .size:           8
        .value_kind:     by_value
      - .offset:         96
        .size:           8
        .value_kind:     by_value
      - .address_space:  global
        .offset:         104
        .size:           8
        .value_kind:     global_buffer
      - .offset:         112
        .size:           8
        .value_kind:     by_value
      - .offset:         120
        .size:           8
        .value_kind:     by_value
      - .offset:         128
        .size:           4
        .value_kind:     by_value
      - .offset:         132
        .size:           4
        .value_kind:     by_value
      - .offset:         136
        .size:           1
        .value_kind:     by_value
      - .offset:         144
        .size:           4
        .value_kind:     hidden_block_count_x
      - .offset:         148
        .size:           4
        .value_kind:     hidden_block_count_y
      - .offset:         152
        .size:           4
        .value_kind:     hidden_block_count_z
      - .offset:         156
        .size:           2
        .value_kind:     hidden_group_size_x
      - .offset:         158
        .size:           2
        .value_kind:     hidden_group_size_y
      - .offset:         160
        .size:           2
        .value_kind:     hidden_group_size_z
      - .offset:         162
        .size:           2
        .value_kind:     hidden_remainder_x
      - .offset:         164
        .size:           2
        .value_kind:     hidden_remainder_y
      - .offset:         166
        .size:           2
        .value_kind:     hidden_remainder_z
      - .offset:         184
        .size:           8
        .value_kind:     hidden_global_offset_x
      - .offset:         192
        .size:           8
        .value_kind:     hidden_global_offset_y
      - .offset:         200
        .size:           8
        .value_kind:     hidden_global_offset_z
      - .offset:         208
        .size:           2
        .value_kind:     hidden_grid_dims
    .group_segment_fixed_size: 2048
    .kernarg_segment_align: 8
    .kernarg_segment_size: 400
    .language:       OpenCL C
    .language_version:
      - 2
      - 0
    .max_flat_workgroup_size: 64
    .name:           _ZN9rocsparseL29bsrmmnt_small_blockdim_kernelILj64ELj8ELj2Ell21rocsparse_complex_numIfES2_S2_S2_EEv20rocsparse_direction_T3_S4_llNS_24const_host_device_scalarIT7_EEPKT2_PKS4_PKT4_PKT5_llS7_PT6_ll16rocsparse_order_21rocsparse_index_base_b
    .private_segment_fixed_size: 0
    .sgpr_count:     28
    .sgpr_spill_count: 0
    .symbol:         _ZN9rocsparseL29bsrmmnt_small_blockdim_kernelILj64ELj8ELj2Ell21rocsparse_complex_numIfES2_S2_S2_EEv20rocsparse_direction_T3_S4_llNS_24const_host_device_scalarIT7_EEPKT2_PKS4_PKT4_PKT5_llS7_PT6_ll16rocsparse_order_21rocsparse_index_base_b.kd
    .uniform_work_group_size: 1
    .uses_dynamic_stack: false
    .vgpr_count:     45
    .vgpr_spill_count: 0
    .wavefront_size: 32
    .workgroup_processor_mode: 1
  - .args:
      - .offset:         0
        .size:           4
        .value_kind:     by_value
      - .offset:         8
        .size:           8
        .value_kind:     by_value
      - .offset:         16
        .size:           8
        .value_kind:     by_value
      - .offset:         24
        .size:           8
        .value_kind:     by_value
      - .offset:         32
        .size:           8
        .value_kind:     by_value
      - .offset:         40
        .size:           8
        .value_kind:     by_value
      - .actual_access:  read_only
        .address_space:  global
        .offset:         48
        .size:           8
        .value_kind:     global_buffer
      - .actual_access:  read_only
        .address_space:  global
        .offset:         56
        .size:           8
        .value_kind:     global_buffer
      - .actual_access:  read_only
        .address_space:  global
        .offset:         64
        .size:           8
        .value_kind:     global_buffer
      - .actual_access:  read_only
        .address_space:  global
        .offset:         72
        .size:           8
        .value_kind:     global_buffer
      - .offset:         80
        .size:           8
        .value_kind:     by_value
      - .offset:         88
        .size:           8
        .value_kind:     by_value
      - .offset:         96
        .size:           8
        .value_kind:     by_value
      - .address_space:  global
        .offset:         104
        .size:           8
        .value_kind:     global_buffer
      - .offset:         112
        .size:           8
        .value_kind:     by_value
      - .offset:         120
        .size:           8
        .value_kind:     by_value
      - .offset:         128
        .size:           4
        .value_kind:     by_value
      - .offset:         132
        .size:           4
        .value_kind:     by_value
      - .offset:         136
        .size:           1
        .value_kind:     by_value
      - .offset:         144
        .size:           4
        .value_kind:     hidden_block_count_x
      - .offset:         148
        .size:           4
        .value_kind:     hidden_block_count_y
      - .offset:         152
        .size:           4
        .value_kind:     hidden_block_count_z
      - .offset:         156
        .size:           2
        .value_kind:     hidden_group_size_x
      - .offset:         158
        .size:           2
        .value_kind:     hidden_group_size_y
      - .offset:         160
        .size:           2
        .value_kind:     hidden_group_size_z
      - .offset:         162
        .size:           2
        .value_kind:     hidden_remainder_x
      - .offset:         164
        .size:           2
        .value_kind:     hidden_remainder_y
      - .offset:         166
        .size:           2
        .value_kind:     hidden_remainder_z
      - .offset:         184
        .size:           8
        .value_kind:     hidden_global_offset_x
      - .offset:         192
        .size:           8
        .value_kind:     hidden_global_offset_y
      - .offset:         200
        .size:           8
        .value_kind:     hidden_global_offset_z
      - .offset:         208
        .size:           2
        .value_kind:     hidden_grid_dims
    .group_segment_fixed_size: 2048
    .kernarg_segment_align: 8
    .kernarg_segment_size: 400
    .language:       OpenCL C
    .language_version:
      - 2
      - 0
    .max_flat_workgroup_size: 64
    .name:           _ZN9rocsparseL29bsrmmnt_small_blockdim_kernelILj64ELj16ELj2Ell21rocsparse_complex_numIfES2_S2_S2_EEv20rocsparse_direction_T3_S4_llNS_24const_host_device_scalarIT7_EEPKT2_PKS4_PKT4_PKT5_llS7_PT6_ll16rocsparse_order_21rocsparse_index_base_b
    .private_segment_fixed_size: 0
    .sgpr_count:     28
    .sgpr_spill_count: 0
    .symbol:         _ZN9rocsparseL29bsrmmnt_small_blockdim_kernelILj64ELj16ELj2Ell21rocsparse_complex_numIfES2_S2_S2_EEv20rocsparse_direction_T3_S4_llNS_24const_host_device_scalarIT7_EEPKT2_PKS4_PKT4_PKT5_llS7_PT6_ll16rocsparse_order_21rocsparse_index_base_b.kd
    .uniform_work_group_size: 1
    .uses_dynamic_stack: false
    .vgpr_count:     45
    .vgpr_spill_count: 0
    .wavefront_size: 32
    .workgroup_processor_mode: 1
  - .args:
      - .offset:         0
        .size:           4
        .value_kind:     by_value
      - .offset:         8
        .size:           8
        .value_kind:     by_value
      - .offset:         16
        .size:           8
        .value_kind:     by_value
      - .offset:         24
        .size:           8
        .value_kind:     by_value
      - .offset:         32
        .size:           8
        .value_kind:     by_value
      - .offset:         40
        .size:           8
        .value_kind:     by_value
      - .actual_access:  read_only
        .address_space:  global
        .offset:         48
        .size:           8
        .value_kind:     global_buffer
      - .actual_access:  read_only
        .address_space:  global
        .offset:         56
        .size:           8
        .value_kind:     global_buffer
      - .actual_access:  read_only
        .address_space:  global
        .offset:         64
        .size:           8
        .value_kind:     global_buffer
      - .actual_access:  read_only
        .address_space:  global
        .offset:         72
        .size:           8
        .value_kind:     global_buffer
      - .offset:         80
        .size:           8
        .value_kind:     by_value
      - .offset:         88
        .size:           8
        .value_kind:     by_value
      - .offset:         96
        .size:           8
        .value_kind:     by_value
      - .address_space:  global
        .offset:         104
        .size:           8
        .value_kind:     global_buffer
      - .offset:         112
        .size:           8
        .value_kind:     by_value
      - .offset:         120
        .size:           8
        .value_kind:     by_value
      - .offset:         128
        .size:           4
        .value_kind:     by_value
      - .offset:         132
        .size:           4
        .value_kind:     by_value
      - .offset:         136
        .size:           1
        .value_kind:     by_value
      - .offset:         144
        .size:           4
        .value_kind:     hidden_block_count_x
      - .offset:         148
        .size:           4
        .value_kind:     hidden_block_count_y
      - .offset:         152
        .size:           4
        .value_kind:     hidden_block_count_z
      - .offset:         156
        .size:           2
        .value_kind:     hidden_group_size_x
      - .offset:         158
        .size:           2
        .value_kind:     hidden_group_size_y
      - .offset:         160
        .size:           2
        .value_kind:     hidden_group_size_z
      - .offset:         162
        .size:           2
        .value_kind:     hidden_remainder_x
      - .offset:         164
        .size:           2
        .value_kind:     hidden_remainder_y
      - .offset:         166
        .size:           2
        .value_kind:     hidden_remainder_z
      - .offset:         184
        .size:           8
        .value_kind:     hidden_global_offset_x
      - .offset:         192
        .size:           8
        .value_kind:     hidden_global_offset_y
      - .offset:         200
        .size:           8
        .value_kind:     hidden_global_offset_z
      - .offset:         208
        .size:           2
        .value_kind:     hidden_grid_dims
    .group_segment_fixed_size: 2048
    .kernarg_segment_align: 8
    .kernarg_segment_size: 400
    .language:       OpenCL C
    .language_version:
      - 2
      - 0
    .max_flat_workgroup_size: 64
    .name:           _ZN9rocsparseL29bsrmmnt_small_blockdim_kernelILj64ELj32ELj2Ell21rocsparse_complex_numIfES2_S2_S2_EEv20rocsparse_direction_T3_S4_llNS_24const_host_device_scalarIT7_EEPKT2_PKS4_PKT4_PKT5_llS7_PT6_ll16rocsparse_order_21rocsparse_index_base_b
    .private_segment_fixed_size: 0
    .sgpr_count:     28
    .sgpr_spill_count: 0
    .symbol:         _ZN9rocsparseL29bsrmmnt_small_blockdim_kernelILj64ELj32ELj2Ell21rocsparse_complex_numIfES2_S2_S2_EEv20rocsparse_direction_T3_S4_llNS_24const_host_device_scalarIT7_EEPKT2_PKS4_PKT4_PKT5_llS7_PT6_ll16rocsparse_order_21rocsparse_index_base_b.kd
    .uniform_work_group_size: 1
    .uses_dynamic_stack: false
    .vgpr_count:     45
    .vgpr_spill_count: 0
    .wavefront_size: 32
    .workgroup_processor_mode: 1
  - .args:
      - .offset:         0
        .size:           4
        .value_kind:     by_value
      - .offset:         8
        .size:           8
        .value_kind:     by_value
      - .offset:         16
        .size:           8
        .value_kind:     by_value
      - .offset:         24
        .size:           8
        .value_kind:     by_value
      - .offset:         32
        .size:           8
        .value_kind:     by_value
      - .offset:         40
        .size:           8
        .value_kind:     by_value
      - .actual_access:  read_only
        .address_space:  global
        .offset:         48
        .size:           8
        .value_kind:     global_buffer
      - .actual_access:  read_only
        .address_space:  global
        .offset:         56
        .size:           8
        .value_kind:     global_buffer
      - .actual_access:  read_only
        .address_space:  global
        .offset:         64
        .size:           8
        .value_kind:     global_buffer
      - .actual_access:  read_only
        .address_space:  global
        .offset:         72
        .size:           8
        .value_kind:     global_buffer
      - .offset:         80
        .size:           8
        .value_kind:     by_value
      - .offset:         88
        .size:           8
        .value_kind:     by_value
      - .offset:         96
        .size:           8
        .value_kind:     by_value
      - .address_space:  global
        .offset:         104
        .size:           8
        .value_kind:     global_buffer
      - .offset:         112
        .size:           8
        .value_kind:     by_value
      - .offset:         120
        .size:           8
        .value_kind:     by_value
      - .offset:         128
        .size:           4
        .value_kind:     by_value
      - .offset:         132
        .size:           4
        .value_kind:     by_value
      - .offset:         136
        .size:           1
        .value_kind:     by_value
      - .offset:         144
        .size:           4
        .value_kind:     hidden_block_count_x
      - .offset:         148
        .size:           4
        .value_kind:     hidden_block_count_y
      - .offset:         152
        .size:           4
        .value_kind:     hidden_block_count_z
      - .offset:         156
        .size:           2
        .value_kind:     hidden_group_size_x
      - .offset:         158
        .size:           2
        .value_kind:     hidden_group_size_y
      - .offset:         160
        .size:           2
        .value_kind:     hidden_group_size_z
      - .offset:         162
        .size:           2
        .value_kind:     hidden_remainder_x
      - .offset:         164
        .size:           2
        .value_kind:     hidden_remainder_y
      - .offset:         166
        .size:           2
        .value_kind:     hidden_remainder_z
      - .offset:         184
        .size:           8
        .value_kind:     hidden_global_offset_x
      - .offset:         192
        .size:           8
        .value_kind:     hidden_global_offset_y
      - .offset:         200
        .size:           8
        .value_kind:     hidden_global_offset_z
      - .offset:         208
        .size:           2
        .value_kind:     hidden_grid_dims
    .group_segment_fixed_size: 2048
    .kernarg_segment_align: 8
    .kernarg_segment_size: 400
    .language:       OpenCL C
    .language_version:
      - 2
      - 0
    .max_flat_workgroup_size: 64
    .name:           _ZN9rocsparseL29bsrmmnt_small_blockdim_kernelILj64ELj64ELj2Ell21rocsparse_complex_numIfES2_S2_S2_EEv20rocsparse_direction_T3_S4_llNS_24const_host_device_scalarIT7_EEPKT2_PKS4_PKT4_PKT5_llS7_PT6_ll16rocsparse_order_21rocsparse_index_base_b
    .private_segment_fixed_size: 0
    .sgpr_count:     28
    .sgpr_spill_count: 0
    .symbol:         _ZN9rocsparseL29bsrmmnt_small_blockdim_kernelILj64ELj64ELj2Ell21rocsparse_complex_numIfES2_S2_S2_EEv20rocsparse_direction_T3_S4_llNS_24const_host_device_scalarIT7_EEPKT2_PKS4_PKT4_PKT5_llS7_PT6_ll16rocsparse_order_21rocsparse_index_base_b.kd
    .uniform_work_group_size: 1
    .uses_dynamic_stack: false
    .vgpr_count:     43
    .vgpr_spill_count: 0
    .wavefront_size: 32
    .workgroup_processor_mode: 1
  - .args:
      - .offset:         0
        .size:           4
        .value_kind:     by_value
      - .offset:         4
        .size:           4
        .value_kind:     by_value
      - .offset:         8
        .size:           4
        .value_kind:     by_value
      - .offset:         16
        .size:           8
        .value_kind:     by_value
      - .offset:         24
        .size:           8
        .value_kind:     by_value
      - .offset:         32
        .size:           16
        .value_kind:     by_value
      - .actual_access:  read_only
        .address_space:  global
        .offset:         48
        .size:           8
        .value_kind:     global_buffer
      - .actual_access:  read_only
        .address_space:  global
        .offset:         56
        .size:           8
        .value_kind:     global_buffer
      - .actual_access:  read_only
        .address_space:  global
        .offset:         64
        .size:           8
        .value_kind:     global_buffer
      - .actual_access:  read_only
        .address_space:  global
        .offset:         72
        .size:           8
        .value_kind:     global_buffer
      - .offset:         80
        .size:           8
        .value_kind:     by_value
      - .offset:         88
        .size:           8
        .value_kind:     by_value
      - .offset:         96
        .size:           16
        .value_kind:     by_value
      - .address_space:  global
        .offset:         112
        .size:           8
        .value_kind:     global_buffer
      - .offset:         120
        .size:           8
        .value_kind:     by_value
      - .offset:         128
        .size:           8
        .value_kind:     by_value
      - .offset:         136
        .size:           4
        .value_kind:     by_value
      - .offset:         140
        .size:           4
        .value_kind:     by_value
      - .offset:         144
        .size:           1
        .value_kind:     by_value
      - .offset:         152
        .size:           4
        .value_kind:     hidden_block_count_x
      - .offset:         156
        .size:           4
        .value_kind:     hidden_block_count_y
      - .offset:         160
        .size:           4
        .value_kind:     hidden_block_count_z
      - .offset:         164
        .size:           2
        .value_kind:     hidden_group_size_x
      - .offset:         166
        .size:           2
        .value_kind:     hidden_group_size_y
      - .offset:         168
        .size:           2
        .value_kind:     hidden_group_size_z
      - .offset:         170
        .size:           2
        .value_kind:     hidden_remainder_x
      - .offset:         172
        .size:           2
        .value_kind:     hidden_remainder_y
      - .offset:         174
        .size:           2
        .value_kind:     hidden_remainder_z
      - .offset:         192
        .size:           8
        .value_kind:     hidden_global_offset_x
      - .offset:         200
        .size:           8
        .value_kind:     hidden_global_offset_y
      - .offset:         208
        .size:           8
        .value_kind:     hidden_global_offset_z
      - .offset:         216
        .size:           2
        .value_kind:     hidden_grid_dims
    .group_segment_fixed_size: 3840
    .kernarg_segment_align: 8
    .kernarg_segment_size: 408
    .language:       OpenCL C
    .language_version:
      - 2
      - 0
    .max_flat_workgroup_size: 64
    .name:           _ZN9rocsparseL29bsrmmnt_small_blockdim_kernelILj64ELj8ELj2Eii21rocsparse_complex_numIdES2_S2_S2_EEv20rocsparse_direction_T3_S4_llNS_24const_host_device_scalarIT7_EEPKT2_PKS4_PKT4_PKT5_llS7_PT6_ll16rocsparse_order_21rocsparse_index_base_b
    .private_segment_fixed_size: 16
    .sgpr_count:     26
    .sgpr_spill_count: 0
    .symbol:         _ZN9rocsparseL29bsrmmnt_small_blockdim_kernelILj64ELj8ELj2Eii21rocsparse_complex_numIdES2_S2_S2_EEv20rocsparse_direction_T3_S4_llNS_24const_host_device_scalarIT7_EEPKT2_PKS4_PKT4_PKT5_llS7_PT6_ll16rocsparse_order_21rocsparse_index_base_b.kd
    .uniform_work_group_size: 1
    .uses_dynamic_stack: false
    .vgpr_count:     63
    .vgpr_spill_count: 0
    .wavefront_size: 32
    .workgroup_processor_mode: 1
  - .args:
      - .offset:         0
        .size:           4
        .value_kind:     by_value
      - .offset:         4
        .size:           4
        .value_kind:     by_value
      - .offset:         8
        .size:           4
        .value_kind:     by_value
      - .offset:         16
        .size:           8
        .value_kind:     by_value
      - .offset:         24
        .size:           8
        .value_kind:     by_value
      - .offset:         32
        .size:           16
        .value_kind:     by_value
      - .actual_access:  read_only
        .address_space:  global
        .offset:         48
        .size:           8
        .value_kind:     global_buffer
      - .actual_access:  read_only
        .address_space:  global
        .offset:         56
        .size:           8
        .value_kind:     global_buffer
      - .actual_access:  read_only
        .address_space:  global
        .offset:         64
        .size:           8
        .value_kind:     global_buffer
      - .actual_access:  read_only
        .address_space:  global
        .offset:         72
        .size:           8
        .value_kind:     global_buffer
      - .offset:         80
        .size:           8
        .value_kind:     by_value
      - .offset:         88
        .size:           8
        .value_kind:     by_value
      - .offset:         96
        .size:           16
        .value_kind:     by_value
      - .address_space:  global
        .offset:         112
        .size:           8
        .value_kind:     global_buffer
      - .offset:         120
        .size:           8
        .value_kind:     by_value
      - .offset:         128
        .size:           8
        .value_kind:     by_value
      - .offset:         136
        .size:           4
        .value_kind:     by_value
      - .offset:         140
        .size:           4
        .value_kind:     by_value
      - .offset:         144
        .size:           1
        .value_kind:     by_value
      - .offset:         152
        .size:           4
        .value_kind:     hidden_block_count_x
      - .offset:         156
        .size:           4
        .value_kind:     hidden_block_count_y
      - .offset:         160
        .size:           4
        .value_kind:     hidden_block_count_z
      - .offset:         164
        .size:           2
        .value_kind:     hidden_group_size_x
      - .offset:         166
        .size:           2
        .value_kind:     hidden_group_size_y
      - .offset:         168
        .size:           2
        .value_kind:     hidden_group_size_z
      - .offset:         170
        .size:           2
        .value_kind:     hidden_remainder_x
      - .offset:         172
        .size:           2
        .value_kind:     hidden_remainder_y
      - .offset:         174
        .size:           2
        .value_kind:     hidden_remainder_z
      - .offset:         192
        .size:           8
        .value_kind:     hidden_global_offset_x
      - .offset:         200
        .size:           8
        .value_kind:     hidden_global_offset_y
      - .offset:         208
        .size:           8
        .value_kind:     hidden_global_offset_z
      - .offset:         216
        .size:           2
        .value_kind:     hidden_grid_dims
    .group_segment_fixed_size: 3840
    .kernarg_segment_align: 8
    .kernarg_segment_size: 408
    .language:       OpenCL C
    .language_version:
      - 2
      - 0
    .max_flat_workgroup_size: 64
    .name:           _ZN9rocsparseL29bsrmmnt_small_blockdim_kernelILj64ELj16ELj2Eii21rocsparse_complex_numIdES2_S2_S2_EEv20rocsparse_direction_T3_S4_llNS_24const_host_device_scalarIT7_EEPKT2_PKS4_PKT4_PKT5_llS7_PT6_ll16rocsparse_order_21rocsparse_index_base_b
    .private_segment_fixed_size: 16
    .sgpr_count:     26
    .sgpr_spill_count: 0
    .symbol:         _ZN9rocsparseL29bsrmmnt_small_blockdim_kernelILj64ELj16ELj2Eii21rocsparse_complex_numIdES2_S2_S2_EEv20rocsparse_direction_T3_S4_llNS_24const_host_device_scalarIT7_EEPKT2_PKS4_PKT4_PKT5_llS7_PT6_ll16rocsparse_order_21rocsparse_index_base_b.kd
    .uniform_work_group_size: 1
    .uses_dynamic_stack: false
    .vgpr_count:     63
    .vgpr_spill_count: 0
    .wavefront_size: 32
    .workgroup_processor_mode: 1
  - .args:
      - .offset:         0
        .size:           4
        .value_kind:     by_value
      - .offset:         4
        .size:           4
        .value_kind:     by_value
      - .offset:         8
        .size:           4
        .value_kind:     by_value
      - .offset:         16
        .size:           8
        .value_kind:     by_value
      - .offset:         24
        .size:           8
        .value_kind:     by_value
      - .offset:         32
        .size:           16
        .value_kind:     by_value
      - .actual_access:  read_only
        .address_space:  global
        .offset:         48
        .size:           8
        .value_kind:     global_buffer
      - .actual_access:  read_only
        .address_space:  global
        .offset:         56
        .size:           8
        .value_kind:     global_buffer
      - .actual_access:  read_only
        .address_space:  global
        .offset:         64
        .size:           8
        .value_kind:     global_buffer
      - .actual_access:  read_only
        .address_space:  global
        .offset:         72
        .size:           8
        .value_kind:     global_buffer
      - .offset:         80
        .size:           8
        .value_kind:     by_value
      - .offset:         88
        .size:           8
        .value_kind:     by_value
      - .offset:         96
        .size:           16
        .value_kind:     by_value
      - .address_space:  global
        .offset:         112
        .size:           8
        .value_kind:     global_buffer
      - .offset:         120
        .size:           8
        .value_kind:     by_value
      - .offset:         128
        .size:           8
        .value_kind:     by_value
      - .offset:         136
        .size:           4
        .value_kind:     by_value
      - .offset:         140
        .size:           4
        .value_kind:     by_value
      - .offset:         144
        .size:           1
        .value_kind:     by_value
      - .offset:         152
        .size:           4
        .value_kind:     hidden_block_count_x
      - .offset:         156
        .size:           4
        .value_kind:     hidden_block_count_y
      - .offset:         160
        .size:           4
        .value_kind:     hidden_block_count_z
      - .offset:         164
        .size:           2
        .value_kind:     hidden_group_size_x
      - .offset:         166
        .size:           2
        .value_kind:     hidden_group_size_y
      - .offset:         168
        .size:           2
        .value_kind:     hidden_group_size_z
      - .offset:         170
        .size:           2
        .value_kind:     hidden_remainder_x
      - .offset:         172
        .size:           2
        .value_kind:     hidden_remainder_y
      - .offset:         174
        .size:           2
        .value_kind:     hidden_remainder_z
      - .offset:         192
        .size:           8
        .value_kind:     hidden_global_offset_x
      - .offset:         200
        .size:           8
        .value_kind:     hidden_global_offset_y
      - .offset:         208
        .size:           8
        .value_kind:     hidden_global_offset_z
      - .offset:         216
        .size:           2
        .value_kind:     hidden_grid_dims
    .group_segment_fixed_size: 3840
    .kernarg_segment_align: 8
    .kernarg_segment_size: 408
    .language:       OpenCL C
    .language_version:
      - 2
      - 0
    .max_flat_workgroup_size: 64
    .name:           _ZN9rocsparseL29bsrmmnt_small_blockdim_kernelILj64ELj32ELj2Eii21rocsparse_complex_numIdES2_S2_S2_EEv20rocsparse_direction_T3_S4_llNS_24const_host_device_scalarIT7_EEPKT2_PKS4_PKT4_PKT5_llS7_PT6_ll16rocsparse_order_21rocsparse_index_base_b
    .private_segment_fixed_size: 16
    .sgpr_count:     26
    .sgpr_spill_count: 0
    .symbol:         _ZN9rocsparseL29bsrmmnt_small_blockdim_kernelILj64ELj32ELj2Eii21rocsparse_complex_numIdES2_S2_S2_EEv20rocsparse_direction_T3_S4_llNS_24const_host_device_scalarIT7_EEPKT2_PKS4_PKT4_PKT5_llS7_PT6_ll16rocsparse_order_21rocsparse_index_base_b.kd
    .uniform_work_group_size: 1
    .uses_dynamic_stack: false
    .vgpr_count:     63
    .vgpr_spill_count: 0
    .wavefront_size: 32
    .workgroup_processor_mode: 1
  - .args:
      - .offset:         0
        .size:           4
        .value_kind:     by_value
      - .offset:         4
        .size:           4
        .value_kind:     by_value
      - .offset:         8
        .size:           4
        .value_kind:     by_value
      - .offset:         16
        .size:           8
        .value_kind:     by_value
      - .offset:         24
        .size:           8
        .value_kind:     by_value
      - .offset:         32
        .size:           16
        .value_kind:     by_value
      - .actual_access:  read_only
        .address_space:  global
        .offset:         48
        .size:           8
        .value_kind:     global_buffer
      - .actual_access:  read_only
        .address_space:  global
        .offset:         56
        .size:           8
        .value_kind:     global_buffer
      - .actual_access:  read_only
        .address_space:  global
        .offset:         64
        .size:           8
        .value_kind:     global_buffer
      - .actual_access:  read_only
        .address_space:  global
        .offset:         72
        .size:           8
        .value_kind:     global_buffer
      - .offset:         80
        .size:           8
        .value_kind:     by_value
      - .offset:         88
        .size:           8
        .value_kind:     by_value
      - .offset:         96
        .size:           16
        .value_kind:     by_value
      - .address_space:  global
        .offset:         112
        .size:           8
        .value_kind:     global_buffer
      - .offset:         120
        .size:           8
        .value_kind:     by_value
      - .offset:         128
        .size:           8
        .value_kind:     by_value
      - .offset:         136
        .size:           4
        .value_kind:     by_value
      - .offset:         140
        .size:           4
        .value_kind:     by_value
      - .offset:         144
        .size:           1
        .value_kind:     by_value
      - .offset:         152
        .size:           4
        .value_kind:     hidden_block_count_x
      - .offset:         156
        .size:           4
        .value_kind:     hidden_block_count_y
      - .offset:         160
        .size:           4
        .value_kind:     hidden_block_count_z
      - .offset:         164
        .size:           2
        .value_kind:     hidden_group_size_x
      - .offset:         166
        .size:           2
        .value_kind:     hidden_group_size_y
      - .offset:         168
        .size:           2
        .value_kind:     hidden_group_size_z
      - .offset:         170
        .size:           2
        .value_kind:     hidden_remainder_x
      - .offset:         172
        .size:           2
        .value_kind:     hidden_remainder_y
      - .offset:         174
        .size:           2
        .value_kind:     hidden_remainder_z
      - .offset:         192
        .size:           8
        .value_kind:     hidden_global_offset_x
      - .offset:         200
        .size:           8
        .value_kind:     hidden_global_offset_y
      - .offset:         208
        .size:           8
        .value_kind:     hidden_global_offset_z
      - .offset:         216
        .size:           2
        .value_kind:     hidden_grid_dims
    .group_segment_fixed_size: 3840
    .kernarg_segment_align: 8
    .kernarg_segment_size: 408
    .language:       OpenCL C
    .language_version:
      - 2
      - 0
    .max_flat_workgroup_size: 64
    .name:           _ZN9rocsparseL29bsrmmnt_small_blockdim_kernelILj64ELj64ELj2Eii21rocsparse_complex_numIdES2_S2_S2_EEv20rocsparse_direction_T3_S4_llNS_24const_host_device_scalarIT7_EEPKT2_PKS4_PKT4_PKT5_llS7_PT6_ll16rocsparse_order_21rocsparse_index_base_b
    .private_segment_fixed_size: 16
    .sgpr_count:     26
    .sgpr_spill_count: 0
    .symbol:         _ZN9rocsparseL29bsrmmnt_small_blockdim_kernelILj64ELj64ELj2Eii21rocsparse_complex_numIdES2_S2_S2_EEv20rocsparse_direction_T3_S4_llNS_24const_host_device_scalarIT7_EEPKT2_PKS4_PKT4_PKT5_llS7_PT6_ll16rocsparse_order_21rocsparse_index_base_b.kd
    .uniform_work_group_size: 1
    .uses_dynamic_stack: false
    .vgpr_count:     61
    .vgpr_spill_count: 0
    .wavefront_size: 32
    .workgroup_processor_mode: 1
  - .args:
      - .offset:         0
        .size:           4
        .value_kind:     by_value
      - .offset:         4
        .size:           4
        .value_kind:     by_value
      - .offset:         8
        .size:           4
        .value_kind:     by_value
      - .offset:         16
        .size:           8
        .value_kind:     by_value
      - .offset:         24
        .size:           8
        .value_kind:     by_value
      - .offset:         32
        .size:           16
        .value_kind:     by_value
      - .actual_access:  read_only
        .address_space:  global
        .offset:         48
        .size:           8
        .value_kind:     global_buffer
      - .actual_access:  read_only
        .address_space:  global
        .offset:         56
        .size:           8
        .value_kind:     global_buffer
      - .actual_access:  read_only
        .address_space:  global
        .offset:         64
        .size:           8
        .value_kind:     global_buffer
      - .actual_access:  read_only
        .address_space:  global
        .offset:         72
        .size:           8
        .value_kind:     global_buffer
      - .offset:         80
        .size:           8
        .value_kind:     by_value
      - .offset:         88
        .size:           8
        .value_kind:     by_value
      - .offset:         96
        .size:           16
        .value_kind:     by_value
      - .address_space:  global
        .offset:         112
        .size:           8
        .value_kind:     global_buffer
      - .offset:         120
        .size:           8
        .value_kind:     by_value
      - .offset:         128
        .size:           8
        .value_kind:     by_value
      - .offset:         136
        .size:           4
        .value_kind:     by_value
      - .offset:         140
        .size:           4
        .value_kind:     by_value
      - .offset:         144
        .size:           1
        .value_kind:     by_value
      - .offset:         152
        .size:           4
        .value_kind:     hidden_block_count_x
      - .offset:         156
        .size:           4
        .value_kind:     hidden_block_count_y
      - .offset:         160
        .size:           4
        .value_kind:     hidden_block_count_z
      - .offset:         164
        .size:           2
        .value_kind:     hidden_group_size_x
      - .offset:         166
        .size:           2
        .value_kind:     hidden_group_size_y
      - .offset:         168
        .size:           2
        .value_kind:     hidden_group_size_z
      - .offset:         170
        .size:           2
        .value_kind:     hidden_remainder_x
      - .offset:         172
        .size:           2
        .value_kind:     hidden_remainder_y
      - .offset:         174
        .size:           2
        .value_kind:     hidden_remainder_z
      - .offset:         192
        .size:           8
        .value_kind:     hidden_global_offset_x
      - .offset:         200
        .size:           8
        .value_kind:     hidden_global_offset_y
      - .offset:         208
        .size:           8
        .value_kind:     hidden_global_offset_z
      - .offset:         216
        .size:           2
        .value_kind:     hidden_grid_dims
    .group_segment_fixed_size: 3840
    .kernarg_segment_align: 8
    .kernarg_segment_size: 408
    .language:       OpenCL C
    .language_version:
      - 2
      - 0
    .max_flat_workgroup_size: 64
    .name:           _ZN9rocsparseL29bsrmmnt_small_blockdim_kernelILj64ELj8ELj2Eli21rocsparse_complex_numIdES2_S2_S2_EEv20rocsparse_direction_T3_S4_llNS_24const_host_device_scalarIT7_EEPKT2_PKS4_PKT4_PKT5_llS7_PT6_ll16rocsparse_order_21rocsparse_index_base_b
    .private_segment_fixed_size: 16
    .sgpr_count:     26
    .sgpr_spill_count: 0
    .symbol:         _ZN9rocsparseL29bsrmmnt_small_blockdim_kernelILj64ELj8ELj2Eli21rocsparse_complex_numIdES2_S2_S2_EEv20rocsparse_direction_T3_S4_llNS_24const_host_device_scalarIT7_EEPKT2_PKS4_PKT4_PKT5_llS7_PT6_ll16rocsparse_order_21rocsparse_index_base_b.kd
    .uniform_work_group_size: 1
    .uses_dynamic_stack: false
    .vgpr_count:     63
    .vgpr_spill_count: 0
    .wavefront_size: 32
    .workgroup_processor_mode: 1
  - .args:
      - .offset:         0
        .size:           4
        .value_kind:     by_value
      - .offset:         4
        .size:           4
        .value_kind:     by_value
      - .offset:         8
        .size:           4
        .value_kind:     by_value
      - .offset:         16
        .size:           8
        .value_kind:     by_value
      - .offset:         24
        .size:           8
        .value_kind:     by_value
      - .offset:         32
        .size:           16
        .value_kind:     by_value
      - .actual_access:  read_only
        .address_space:  global
        .offset:         48
        .size:           8
        .value_kind:     global_buffer
      - .actual_access:  read_only
        .address_space:  global
        .offset:         56
        .size:           8
        .value_kind:     global_buffer
      - .actual_access:  read_only
        .address_space:  global
        .offset:         64
        .size:           8
        .value_kind:     global_buffer
      - .actual_access:  read_only
        .address_space:  global
        .offset:         72
        .size:           8
        .value_kind:     global_buffer
      - .offset:         80
        .size:           8
        .value_kind:     by_value
      - .offset:         88
        .size:           8
        .value_kind:     by_value
      - .offset:         96
        .size:           16
        .value_kind:     by_value
      - .address_space:  global
        .offset:         112
        .size:           8
        .value_kind:     global_buffer
      - .offset:         120
        .size:           8
        .value_kind:     by_value
      - .offset:         128
        .size:           8
        .value_kind:     by_value
      - .offset:         136
        .size:           4
        .value_kind:     by_value
      - .offset:         140
        .size:           4
        .value_kind:     by_value
      - .offset:         144
        .size:           1
        .value_kind:     by_value
      - .offset:         152
        .size:           4
        .value_kind:     hidden_block_count_x
      - .offset:         156
        .size:           4
        .value_kind:     hidden_block_count_y
      - .offset:         160
        .size:           4
        .value_kind:     hidden_block_count_z
      - .offset:         164
        .size:           2
        .value_kind:     hidden_group_size_x
      - .offset:         166
        .size:           2
        .value_kind:     hidden_group_size_y
      - .offset:         168
        .size:           2
        .value_kind:     hidden_group_size_z
      - .offset:         170
        .size:           2
        .value_kind:     hidden_remainder_x
      - .offset:         172
        .size:           2
        .value_kind:     hidden_remainder_y
      - .offset:         174
        .size:           2
        .value_kind:     hidden_remainder_z
      - .offset:         192
        .size:           8
        .value_kind:     hidden_global_offset_x
      - .offset:         200
        .size:           8
        .value_kind:     hidden_global_offset_y
      - .offset:         208
        .size:           8
        .value_kind:     hidden_global_offset_z
      - .offset:         216
        .size:           2
        .value_kind:     hidden_grid_dims
    .group_segment_fixed_size: 3840
    .kernarg_segment_align: 8
    .kernarg_segment_size: 408
    .language:       OpenCL C
    .language_version:
      - 2
      - 0
    .max_flat_workgroup_size: 64
    .name:           _ZN9rocsparseL29bsrmmnt_small_blockdim_kernelILj64ELj16ELj2Eli21rocsparse_complex_numIdES2_S2_S2_EEv20rocsparse_direction_T3_S4_llNS_24const_host_device_scalarIT7_EEPKT2_PKS4_PKT4_PKT5_llS7_PT6_ll16rocsparse_order_21rocsparse_index_base_b
    .private_segment_fixed_size: 16
    .sgpr_count:     26
    .sgpr_spill_count: 0
    .symbol:         _ZN9rocsparseL29bsrmmnt_small_blockdim_kernelILj64ELj16ELj2Eli21rocsparse_complex_numIdES2_S2_S2_EEv20rocsparse_direction_T3_S4_llNS_24const_host_device_scalarIT7_EEPKT2_PKS4_PKT4_PKT5_llS7_PT6_ll16rocsparse_order_21rocsparse_index_base_b.kd
    .uniform_work_group_size: 1
    .uses_dynamic_stack: false
    .vgpr_count:     63
    .vgpr_spill_count: 0
    .wavefront_size: 32
    .workgroup_processor_mode: 1
  - .args:
      - .offset:         0
        .size:           4
        .value_kind:     by_value
      - .offset:         4
        .size:           4
        .value_kind:     by_value
      - .offset:         8
        .size:           4
        .value_kind:     by_value
      - .offset:         16
        .size:           8
        .value_kind:     by_value
      - .offset:         24
        .size:           8
        .value_kind:     by_value
      - .offset:         32
        .size:           16
        .value_kind:     by_value
      - .actual_access:  read_only
        .address_space:  global
        .offset:         48
        .size:           8
        .value_kind:     global_buffer
      - .actual_access:  read_only
        .address_space:  global
        .offset:         56
        .size:           8
        .value_kind:     global_buffer
      - .actual_access:  read_only
        .address_space:  global
        .offset:         64
        .size:           8
        .value_kind:     global_buffer
      - .actual_access:  read_only
        .address_space:  global
        .offset:         72
        .size:           8
        .value_kind:     global_buffer
      - .offset:         80
        .size:           8
        .value_kind:     by_value
      - .offset:         88
        .size:           8
        .value_kind:     by_value
      - .offset:         96
        .size:           16
        .value_kind:     by_value
      - .address_space:  global
        .offset:         112
        .size:           8
        .value_kind:     global_buffer
      - .offset:         120
        .size:           8
        .value_kind:     by_value
      - .offset:         128
        .size:           8
        .value_kind:     by_value
      - .offset:         136
        .size:           4
        .value_kind:     by_value
      - .offset:         140
        .size:           4
        .value_kind:     by_value
      - .offset:         144
        .size:           1
        .value_kind:     by_value
      - .offset:         152
        .size:           4
        .value_kind:     hidden_block_count_x
      - .offset:         156
        .size:           4
        .value_kind:     hidden_block_count_y
      - .offset:         160
        .size:           4
        .value_kind:     hidden_block_count_z
      - .offset:         164
        .size:           2
        .value_kind:     hidden_group_size_x
      - .offset:         166
        .size:           2
        .value_kind:     hidden_group_size_y
      - .offset:         168
        .size:           2
        .value_kind:     hidden_group_size_z
      - .offset:         170
        .size:           2
        .value_kind:     hidden_remainder_x
      - .offset:         172
        .size:           2
        .value_kind:     hidden_remainder_y
      - .offset:         174
        .size:           2
        .value_kind:     hidden_remainder_z
      - .offset:         192
        .size:           8
        .value_kind:     hidden_global_offset_x
      - .offset:         200
        .size:           8
        .value_kind:     hidden_global_offset_y
      - .offset:         208
        .size:           8
        .value_kind:     hidden_global_offset_z
      - .offset:         216
        .size:           2
        .value_kind:     hidden_grid_dims
    .group_segment_fixed_size: 3840
    .kernarg_segment_align: 8
    .kernarg_segment_size: 408
    .language:       OpenCL C
    .language_version:
      - 2
      - 0
    .max_flat_workgroup_size: 64
    .name:           _ZN9rocsparseL29bsrmmnt_small_blockdim_kernelILj64ELj32ELj2Eli21rocsparse_complex_numIdES2_S2_S2_EEv20rocsparse_direction_T3_S4_llNS_24const_host_device_scalarIT7_EEPKT2_PKS4_PKT4_PKT5_llS7_PT6_ll16rocsparse_order_21rocsparse_index_base_b
    .private_segment_fixed_size: 16
    .sgpr_count:     26
    .sgpr_spill_count: 0
    .symbol:         _ZN9rocsparseL29bsrmmnt_small_blockdim_kernelILj64ELj32ELj2Eli21rocsparse_complex_numIdES2_S2_S2_EEv20rocsparse_direction_T3_S4_llNS_24const_host_device_scalarIT7_EEPKT2_PKS4_PKT4_PKT5_llS7_PT6_ll16rocsparse_order_21rocsparse_index_base_b.kd
    .uniform_work_group_size: 1
    .uses_dynamic_stack: false
    .vgpr_count:     63
    .vgpr_spill_count: 0
    .wavefront_size: 32
    .workgroup_processor_mode: 1
  - .args:
      - .offset:         0
        .size:           4
        .value_kind:     by_value
      - .offset:         4
        .size:           4
        .value_kind:     by_value
      - .offset:         8
        .size:           4
        .value_kind:     by_value
      - .offset:         16
        .size:           8
        .value_kind:     by_value
      - .offset:         24
        .size:           8
        .value_kind:     by_value
      - .offset:         32
        .size:           16
        .value_kind:     by_value
      - .actual_access:  read_only
        .address_space:  global
        .offset:         48
        .size:           8
        .value_kind:     global_buffer
      - .actual_access:  read_only
        .address_space:  global
        .offset:         56
        .size:           8
        .value_kind:     global_buffer
      - .actual_access:  read_only
        .address_space:  global
        .offset:         64
        .size:           8
        .value_kind:     global_buffer
      - .actual_access:  read_only
        .address_space:  global
        .offset:         72
        .size:           8
        .value_kind:     global_buffer
      - .offset:         80
        .size:           8
        .value_kind:     by_value
      - .offset:         88
        .size:           8
        .value_kind:     by_value
      - .offset:         96
        .size:           16
        .value_kind:     by_value
      - .address_space:  global
        .offset:         112
        .size:           8
        .value_kind:     global_buffer
      - .offset:         120
        .size:           8
        .value_kind:     by_value
      - .offset:         128
        .size:           8
        .value_kind:     by_value
      - .offset:         136
        .size:           4
        .value_kind:     by_value
      - .offset:         140
        .size:           4
        .value_kind:     by_value
      - .offset:         144
        .size:           1
        .value_kind:     by_value
      - .offset:         152
        .size:           4
        .value_kind:     hidden_block_count_x
      - .offset:         156
        .size:           4
        .value_kind:     hidden_block_count_y
      - .offset:         160
        .size:           4
        .value_kind:     hidden_block_count_z
      - .offset:         164
        .size:           2
        .value_kind:     hidden_group_size_x
      - .offset:         166
        .size:           2
        .value_kind:     hidden_group_size_y
      - .offset:         168
        .size:           2
        .value_kind:     hidden_group_size_z
      - .offset:         170
        .size:           2
        .value_kind:     hidden_remainder_x
      - .offset:         172
        .size:           2
        .value_kind:     hidden_remainder_y
      - .offset:         174
        .size:           2
        .value_kind:     hidden_remainder_z
      - .offset:         192
        .size:           8
        .value_kind:     hidden_global_offset_x
      - .offset:         200
        .size:           8
        .value_kind:     hidden_global_offset_y
      - .offset:         208
        .size:           8
        .value_kind:     hidden_global_offset_z
      - .offset:         216
        .size:           2
        .value_kind:     hidden_grid_dims
    .group_segment_fixed_size: 3840
    .kernarg_segment_align: 8
    .kernarg_segment_size: 408
    .language:       OpenCL C
    .language_version:
      - 2
      - 0
    .max_flat_workgroup_size: 64
    .name:           _ZN9rocsparseL29bsrmmnt_small_blockdim_kernelILj64ELj64ELj2Eli21rocsparse_complex_numIdES2_S2_S2_EEv20rocsparse_direction_T3_S4_llNS_24const_host_device_scalarIT7_EEPKT2_PKS4_PKT4_PKT5_llS7_PT6_ll16rocsparse_order_21rocsparse_index_base_b
    .private_segment_fixed_size: 16
    .sgpr_count:     26
    .sgpr_spill_count: 0
    .symbol:         _ZN9rocsparseL29bsrmmnt_small_blockdim_kernelILj64ELj64ELj2Eli21rocsparse_complex_numIdES2_S2_S2_EEv20rocsparse_direction_T3_S4_llNS_24const_host_device_scalarIT7_EEPKT2_PKS4_PKT4_PKT5_llS7_PT6_ll16rocsparse_order_21rocsparse_index_base_b.kd
    .uniform_work_group_size: 1
    .uses_dynamic_stack: false
    .vgpr_count:     61
    .vgpr_spill_count: 0
    .wavefront_size: 32
    .workgroup_processor_mode: 1
  - .args:
      - .offset:         0
        .size:           4
        .value_kind:     by_value
      - .offset:         8
        .size:           8
        .value_kind:     by_value
      - .offset:         16
        .size:           8
        .value_kind:     by_value
      - .offset:         24
        .size:           8
        .value_kind:     by_value
      - .offset:         32
        .size:           8
        .value_kind:     by_value
      - .offset:         40
        .size:           16
        .value_kind:     by_value
      - .actual_access:  read_only
        .address_space:  global
        .offset:         56
        .size:           8
        .value_kind:     global_buffer
      - .actual_access:  read_only
        .address_space:  global
        .offset:         64
        .size:           8
        .value_kind:     global_buffer
      - .actual_access:  read_only
        .address_space:  global
        .offset:         72
        .size:           8
        .value_kind:     global_buffer
      - .actual_access:  read_only
        .address_space:  global
        .offset:         80
        .size:           8
        .value_kind:     global_buffer
      - .offset:         88
        .size:           8
        .value_kind:     by_value
      - .offset:         96
        .size:           8
        .value_kind:     by_value
      - .offset:         104
        .size:           16
        .value_kind:     by_value
      - .address_space:  global
        .offset:         120
        .size:           8
        .value_kind:     global_buffer
      - .offset:         128
        .size:           8
        .value_kind:     by_value
      - .offset:         136
        .size:           8
        .value_kind:     by_value
      - .offset:         144
        .size:           4
        .value_kind:     by_value
      - .offset:         148
        .size:           4
        .value_kind:     by_value
      - .offset:         152
        .size:           1
        .value_kind:     by_value
      - .offset:         160
        .size:           4
        .value_kind:     hidden_block_count_x
      - .offset:         164
        .size:           4
        .value_kind:     hidden_block_count_y
      - .offset:         168
        .size:           4
        .value_kind:     hidden_block_count_z
      - .offset:         172
        .size:           2
        .value_kind:     hidden_group_size_x
      - .offset:         174
        .size:           2
        .value_kind:     hidden_group_size_y
      - .offset:         176
        .size:           2
        .value_kind:     hidden_group_size_z
      - .offset:         178
        .size:           2
        .value_kind:     hidden_remainder_x
      - .offset:         180
        .size:           2
        .value_kind:     hidden_remainder_y
      - .offset:         182
        .size:           2
        .value_kind:     hidden_remainder_z
      - .offset:         200
        .size:           8
        .value_kind:     hidden_global_offset_x
      - .offset:         208
        .size:           8
        .value_kind:     hidden_global_offset_y
      - .offset:         216
        .size:           8
        .value_kind:     hidden_global_offset_z
      - .offset:         224
        .size:           2
        .value_kind:     hidden_grid_dims
    .group_segment_fixed_size: 4096
    .kernarg_segment_align: 8
    .kernarg_segment_size: 416
    .language:       OpenCL C
    .language_version:
      - 2
      - 0
    .max_flat_workgroup_size: 64
    .name:           _ZN9rocsparseL29bsrmmnt_small_blockdim_kernelILj64ELj8ELj2Ell21rocsparse_complex_numIdES2_S2_S2_EEv20rocsparse_direction_T3_S4_llNS_24const_host_device_scalarIT7_EEPKT2_PKS4_PKT4_PKT5_llS7_PT6_ll16rocsparse_order_21rocsparse_index_base_b
    .private_segment_fixed_size: 16
    .sgpr_count:     29
    .sgpr_spill_count: 0
    .symbol:         _ZN9rocsparseL29bsrmmnt_small_blockdim_kernelILj64ELj8ELj2Ell21rocsparse_complex_numIdES2_S2_S2_EEv20rocsparse_direction_T3_S4_llNS_24const_host_device_scalarIT7_EEPKT2_PKS4_PKT4_PKT5_llS7_PT6_ll16rocsparse_order_21rocsparse_index_base_b.kd
    .uniform_work_group_size: 1
    .uses_dynamic_stack: false
    .vgpr_count:     65
    .vgpr_spill_count: 0
    .wavefront_size: 32
    .workgroup_processor_mode: 1
  - .args:
      - .offset:         0
        .size:           4
        .value_kind:     by_value
      - .offset:         8
        .size:           8
        .value_kind:     by_value
      - .offset:         16
        .size:           8
        .value_kind:     by_value
      - .offset:         24
        .size:           8
        .value_kind:     by_value
      - .offset:         32
        .size:           8
        .value_kind:     by_value
      - .offset:         40
        .size:           16
        .value_kind:     by_value
      - .actual_access:  read_only
        .address_space:  global
        .offset:         56
        .size:           8
        .value_kind:     global_buffer
      - .actual_access:  read_only
        .address_space:  global
        .offset:         64
        .size:           8
        .value_kind:     global_buffer
      - .actual_access:  read_only
        .address_space:  global
        .offset:         72
        .size:           8
        .value_kind:     global_buffer
      - .actual_access:  read_only
        .address_space:  global
        .offset:         80
        .size:           8
        .value_kind:     global_buffer
      - .offset:         88
        .size:           8
        .value_kind:     by_value
      - .offset:         96
        .size:           8
        .value_kind:     by_value
      - .offset:         104
        .size:           16
        .value_kind:     by_value
      - .address_space:  global
        .offset:         120
        .size:           8
        .value_kind:     global_buffer
      - .offset:         128
        .size:           8
        .value_kind:     by_value
      - .offset:         136
        .size:           8
        .value_kind:     by_value
      - .offset:         144
        .size:           4
        .value_kind:     by_value
      - .offset:         148
        .size:           4
        .value_kind:     by_value
      - .offset:         152
        .size:           1
        .value_kind:     by_value
      - .offset:         160
        .size:           4
        .value_kind:     hidden_block_count_x
      - .offset:         164
        .size:           4
        .value_kind:     hidden_block_count_y
      - .offset:         168
        .size:           4
        .value_kind:     hidden_block_count_z
      - .offset:         172
        .size:           2
        .value_kind:     hidden_group_size_x
      - .offset:         174
        .size:           2
        .value_kind:     hidden_group_size_y
      - .offset:         176
        .size:           2
        .value_kind:     hidden_group_size_z
      - .offset:         178
        .size:           2
        .value_kind:     hidden_remainder_x
      - .offset:         180
        .size:           2
        .value_kind:     hidden_remainder_y
      - .offset:         182
        .size:           2
        .value_kind:     hidden_remainder_z
      - .offset:         200
        .size:           8
        .value_kind:     hidden_global_offset_x
      - .offset:         208
        .size:           8
        .value_kind:     hidden_global_offset_y
      - .offset:         216
        .size:           8
        .value_kind:     hidden_global_offset_z
      - .offset:         224
        .size:           2
        .value_kind:     hidden_grid_dims
    .group_segment_fixed_size: 4096
    .kernarg_segment_align: 8
    .kernarg_segment_size: 416
    .language:       OpenCL C
    .language_version:
      - 2
      - 0
    .max_flat_workgroup_size: 64
    .name:           _ZN9rocsparseL29bsrmmnt_small_blockdim_kernelILj64ELj16ELj2Ell21rocsparse_complex_numIdES2_S2_S2_EEv20rocsparse_direction_T3_S4_llNS_24const_host_device_scalarIT7_EEPKT2_PKS4_PKT4_PKT5_llS7_PT6_ll16rocsparse_order_21rocsparse_index_base_b
    .private_segment_fixed_size: 16
    .sgpr_count:     29
    .sgpr_spill_count: 0
    .symbol:         _ZN9rocsparseL29bsrmmnt_small_blockdim_kernelILj64ELj16ELj2Ell21rocsparse_complex_numIdES2_S2_S2_EEv20rocsparse_direction_T3_S4_llNS_24const_host_device_scalarIT7_EEPKT2_PKS4_PKT4_PKT5_llS7_PT6_ll16rocsparse_order_21rocsparse_index_base_b.kd
    .uniform_work_group_size: 1
    .uses_dynamic_stack: false
    .vgpr_count:     65
    .vgpr_spill_count: 0
    .wavefront_size: 32
    .workgroup_processor_mode: 1
  - .args:
      - .offset:         0
        .size:           4
        .value_kind:     by_value
      - .offset:         8
        .size:           8
        .value_kind:     by_value
      - .offset:         16
        .size:           8
        .value_kind:     by_value
      - .offset:         24
        .size:           8
        .value_kind:     by_value
      - .offset:         32
        .size:           8
        .value_kind:     by_value
      - .offset:         40
        .size:           16
        .value_kind:     by_value
      - .actual_access:  read_only
        .address_space:  global
        .offset:         56
        .size:           8
        .value_kind:     global_buffer
      - .actual_access:  read_only
        .address_space:  global
        .offset:         64
        .size:           8
        .value_kind:     global_buffer
      - .actual_access:  read_only
        .address_space:  global
        .offset:         72
        .size:           8
        .value_kind:     global_buffer
      - .actual_access:  read_only
        .address_space:  global
        .offset:         80
        .size:           8
        .value_kind:     global_buffer
      - .offset:         88
        .size:           8
        .value_kind:     by_value
      - .offset:         96
        .size:           8
        .value_kind:     by_value
      - .offset:         104
        .size:           16
        .value_kind:     by_value
      - .address_space:  global
        .offset:         120
        .size:           8
        .value_kind:     global_buffer
      - .offset:         128
        .size:           8
        .value_kind:     by_value
      - .offset:         136
        .size:           8
        .value_kind:     by_value
      - .offset:         144
        .size:           4
        .value_kind:     by_value
      - .offset:         148
        .size:           4
        .value_kind:     by_value
      - .offset:         152
        .size:           1
        .value_kind:     by_value
      - .offset:         160
        .size:           4
        .value_kind:     hidden_block_count_x
      - .offset:         164
        .size:           4
        .value_kind:     hidden_block_count_y
      - .offset:         168
        .size:           4
        .value_kind:     hidden_block_count_z
      - .offset:         172
        .size:           2
        .value_kind:     hidden_group_size_x
      - .offset:         174
        .size:           2
        .value_kind:     hidden_group_size_y
      - .offset:         176
        .size:           2
        .value_kind:     hidden_group_size_z
      - .offset:         178
        .size:           2
        .value_kind:     hidden_remainder_x
      - .offset:         180
        .size:           2
        .value_kind:     hidden_remainder_y
      - .offset:         182
        .size:           2
        .value_kind:     hidden_remainder_z
      - .offset:         200
        .size:           8
        .value_kind:     hidden_global_offset_x
      - .offset:         208
        .size:           8
        .value_kind:     hidden_global_offset_y
      - .offset:         216
        .size:           8
        .value_kind:     hidden_global_offset_z
      - .offset:         224
        .size:           2
        .value_kind:     hidden_grid_dims
    .group_segment_fixed_size: 4096
    .kernarg_segment_align: 8
    .kernarg_segment_size: 416
    .language:       OpenCL C
    .language_version:
      - 2
      - 0
    .max_flat_workgroup_size: 64
    .name:           _ZN9rocsparseL29bsrmmnt_small_blockdim_kernelILj64ELj32ELj2Ell21rocsparse_complex_numIdES2_S2_S2_EEv20rocsparse_direction_T3_S4_llNS_24const_host_device_scalarIT7_EEPKT2_PKS4_PKT4_PKT5_llS7_PT6_ll16rocsparse_order_21rocsparse_index_base_b
    .private_segment_fixed_size: 16
    .sgpr_count:     29
    .sgpr_spill_count: 0
    .symbol:         _ZN9rocsparseL29bsrmmnt_small_blockdim_kernelILj64ELj32ELj2Ell21rocsparse_complex_numIdES2_S2_S2_EEv20rocsparse_direction_T3_S4_llNS_24const_host_device_scalarIT7_EEPKT2_PKS4_PKT4_PKT5_llS7_PT6_ll16rocsparse_order_21rocsparse_index_base_b.kd
    .uniform_work_group_size: 1
    .uses_dynamic_stack: false
    .vgpr_count:     65
    .vgpr_spill_count: 0
    .wavefront_size: 32
    .workgroup_processor_mode: 1
  - .args:
      - .offset:         0
        .size:           4
        .value_kind:     by_value
      - .offset:         8
        .size:           8
        .value_kind:     by_value
      - .offset:         16
        .size:           8
        .value_kind:     by_value
      - .offset:         24
        .size:           8
        .value_kind:     by_value
      - .offset:         32
        .size:           8
        .value_kind:     by_value
      - .offset:         40
        .size:           16
        .value_kind:     by_value
      - .actual_access:  read_only
        .address_space:  global
        .offset:         56
        .size:           8
        .value_kind:     global_buffer
      - .actual_access:  read_only
        .address_space:  global
        .offset:         64
        .size:           8
        .value_kind:     global_buffer
      - .actual_access:  read_only
        .address_space:  global
        .offset:         72
        .size:           8
        .value_kind:     global_buffer
      - .actual_access:  read_only
        .address_space:  global
        .offset:         80
        .size:           8
        .value_kind:     global_buffer
      - .offset:         88
        .size:           8
        .value_kind:     by_value
      - .offset:         96
        .size:           8
        .value_kind:     by_value
      - .offset:         104
        .size:           16
        .value_kind:     by_value
      - .address_space:  global
        .offset:         120
        .size:           8
        .value_kind:     global_buffer
      - .offset:         128
        .size:           8
        .value_kind:     by_value
      - .offset:         136
        .size:           8
        .value_kind:     by_value
      - .offset:         144
        .size:           4
        .value_kind:     by_value
      - .offset:         148
        .size:           4
        .value_kind:     by_value
      - .offset:         152
        .size:           1
        .value_kind:     by_value
      - .offset:         160
        .size:           4
        .value_kind:     hidden_block_count_x
      - .offset:         164
        .size:           4
        .value_kind:     hidden_block_count_y
      - .offset:         168
        .size:           4
        .value_kind:     hidden_block_count_z
      - .offset:         172
        .size:           2
        .value_kind:     hidden_group_size_x
      - .offset:         174
        .size:           2
        .value_kind:     hidden_group_size_y
      - .offset:         176
        .size:           2
        .value_kind:     hidden_group_size_z
      - .offset:         178
        .size:           2
        .value_kind:     hidden_remainder_x
      - .offset:         180
        .size:           2
        .value_kind:     hidden_remainder_y
      - .offset:         182
        .size:           2
        .value_kind:     hidden_remainder_z
      - .offset:         200
        .size:           8
        .value_kind:     hidden_global_offset_x
      - .offset:         208
        .size:           8
        .value_kind:     hidden_global_offset_y
      - .offset:         216
        .size:           8
        .value_kind:     hidden_global_offset_z
      - .offset:         224
        .size:           2
        .value_kind:     hidden_grid_dims
    .group_segment_fixed_size: 4096
    .kernarg_segment_align: 8
    .kernarg_segment_size: 416
    .language:       OpenCL C
    .language_version:
      - 2
      - 0
    .max_flat_workgroup_size: 64
    .name:           _ZN9rocsparseL29bsrmmnt_small_blockdim_kernelILj64ELj64ELj2Ell21rocsparse_complex_numIdES2_S2_S2_EEv20rocsparse_direction_T3_S4_llNS_24const_host_device_scalarIT7_EEPKT2_PKS4_PKT4_PKT5_llS7_PT6_ll16rocsparse_order_21rocsparse_index_base_b
    .private_segment_fixed_size: 16
    .sgpr_count:     29
    .sgpr_spill_count: 0
    .symbol:         _ZN9rocsparseL29bsrmmnt_small_blockdim_kernelILj64ELj64ELj2Ell21rocsparse_complex_numIdES2_S2_S2_EEv20rocsparse_direction_T3_S4_llNS_24const_host_device_scalarIT7_EEPKT2_PKS4_PKT4_PKT5_llS7_PT6_ll16rocsparse_order_21rocsparse_index_base_b.kd
    .uniform_work_group_size: 1
    .uses_dynamic_stack: false
    .vgpr_count:     63
    .vgpr_spill_count: 0
    .wavefront_size: 32
    .workgroup_processor_mode: 1
  - .args:
      - .offset:         0
        .size:           4
        .value_kind:     by_value
      - .offset:         4
        .size:           4
        .value_kind:     by_value
      - .offset:         8
        .size:           4
        .value_kind:     by_value
      - .offset:         16
        .size:           8
        .value_kind:     by_value
      - .offset:         24
        .size:           8
        .value_kind:     by_value
      - .offset:         32
        .size:           8
        .value_kind:     by_value
      - .actual_access:  read_only
        .address_space:  global
        .offset:         40
        .size:           8
        .value_kind:     global_buffer
      - .actual_access:  read_only
        .address_space:  global
        .offset:         48
        .size:           8
        .value_kind:     global_buffer
      - .actual_access:  read_only
        .address_space:  global
        .offset:         56
        .size:           8
        .value_kind:     global_buffer
      - .actual_access:  read_only
        .address_space:  global
        .offset:         64
        .size:           8
        .value_kind:     global_buffer
      - .offset:         72
        .size:           8
        .value_kind:     by_value
      - .offset:         80
        .size:           8
        .value_kind:     by_value
      - .offset:         88
        .size:           8
        .value_kind:     by_value
      - .address_space:  global
        .offset:         96
        .size:           8
        .value_kind:     global_buffer
      - .offset:         104
        .size:           8
        .value_kind:     by_value
      - .offset:         112
        .size:           8
        .value_kind:     by_value
      - .offset:         120
        .size:           4
        .value_kind:     by_value
      - .offset:         124
        .size:           4
        .value_kind:     by_value
      - .offset:         128
        .size:           1
        .value_kind:     by_value
      - .offset:         136
        .size:           4
        .value_kind:     hidden_block_count_x
      - .offset:         140
        .size:           4
        .value_kind:     hidden_block_count_y
      - .offset:         144
        .size:           4
        .value_kind:     hidden_block_count_z
      - .offset:         148
        .size:           2
        .value_kind:     hidden_group_size_x
      - .offset:         150
        .size:           2
        .value_kind:     hidden_group_size_y
      - .offset:         152
        .size:           2
        .value_kind:     hidden_group_size_z
      - .offset:         154
        .size:           2
        .value_kind:     hidden_remainder_x
      - .offset:         156
        .size:           2
        .value_kind:     hidden_remainder_y
      - .offset:         158
        .size:           2
        .value_kind:     hidden_remainder_z
      - .offset:         176
        .size:           8
        .value_kind:     hidden_global_offset_x
      - .offset:         184
        .size:           8
        .value_kind:     hidden_global_offset_y
      - .offset:         192
        .size:           8
        .value_kind:     hidden_global_offset_z
      - .offset:         200
        .size:           2
        .value_kind:     hidden_grid_dims
    .group_segment_fixed_size: 640
    .kernarg_segment_align: 8
    .kernarg_segment_size: 392
    .language:       OpenCL C
    .language_version:
      - 2
      - 0
    .max_flat_workgroup_size: 64
    .name:           _ZN9rocsparseL29bsrmmnt_small_blockdim_kernelILj64ELj8ELj2EiiDF16_DF16_ffEEv20rocsparse_direction_T3_S2_llNS_24const_host_device_scalarIT7_EEPKT2_PKS2_PKT4_PKT5_llS5_PT6_ll16rocsparse_order_21rocsparse_index_base_b
    .private_segment_fixed_size: 0
    .sgpr_count:     28
    .sgpr_spill_count: 0
    .symbol:         _ZN9rocsparseL29bsrmmnt_small_blockdim_kernelILj64ELj8ELj2EiiDF16_DF16_ffEEv20rocsparse_direction_T3_S2_llNS_24const_host_device_scalarIT7_EEPKT2_PKS2_PKT4_PKT5_llS5_PT6_ll16rocsparse_order_21rocsparse_index_base_b.kd
    .uniform_work_group_size: 1
    .uses_dynamic_stack: false
    .vgpr_count:     37
    .vgpr_spill_count: 0
    .wavefront_size: 32
    .workgroup_processor_mode: 1
  - .args:
      - .offset:         0
        .size:           4
        .value_kind:     by_value
      - .offset:         4
        .size:           4
        .value_kind:     by_value
      - .offset:         8
        .size:           4
        .value_kind:     by_value
      - .offset:         16
        .size:           8
        .value_kind:     by_value
      - .offset:         24
        .size:           8
        .value_kind:     by_value
      - .offset:         32
        .size:           8
        .value_kind:     by_value
      - .actual_access:  read_only
        .address_space:  global
        .offset:         40
        .size:           8
        .value_kind:     global_buffer
      - .actual_access:  read_only
        .address_space:  global
        .offset:         48
        .size:           8
        .value_kind:     global_buffer
      - .actual_access:  read_only
        .address_space:  global
        .offset:         56
        .size:           8
        .value_kind:     global_buffer
      - .actual_access:  read_only
        .address_space:  global
        .offset:         64
        .size:           8
        .value_kind:     global_buffer
      - .offset:         72
        .size:           8
        .value_kind:     by_value
      - .offset:         80
        .size:           8
        .value_kind:     by_value
      - .offset:         88
        .size:           8
        .value_kind:     by_value
      - .address_space:  global
        .offset:         96
        .size:           8
        .value_kind:     global_buffer
      - .offset:         104
        .size:           8
        .value_kind:     by_value
      - .offset:         112
        .size:           8
        .value_kind:     by_value
      - .offset:         120
        .size:           4
        .value_kind:     by_value
      - .offset:         124
        .size:           4
        .value_kind:     by_value
      - .offset:         128
        .size:           1
        .value_kind:     by_value
      - .offset:         136
        .size:           4
        .value_kind:     hidden_block_count_x
      - .offset:         140
        .size:           4
        .value_kind:     hidden_block_count_y
      - .offset:         144
        .size:           4
        .value_kind:     hidden_block_count_z
      - .offset:         148
        .size:           2
        .value_kind:     hidden_group_size_x
      - .offset:         150
        .size:           2
        .value_kind:     hidden_group_size_y
      - .offset:         152
        .size:           2
        .value_kind:     hidden_group_size_z
      - .offset:         154
        .size:           2
        .value_kind:     hidden_remainder_x
      - .offset:         156
        .size:           2
        .value_kind:     hidden_remainder_y
      - .offset:         158
        .size:           2
        .value_kind:     hidden_remainder_z
      - .offset:         176
        .size:           8
        .value_kind:     hidden_global_offset_x
      - .offset:         184
        .size:           8
        .value_kind:     hidden_global_offset_y
      - .offset:         192
        .size:           8
        .value_kind:     hidden_global_offset_z
      - .offset:         200
        .size:           2
        .value_kind:     hidden_grid_dims
    .group_segment_fixed_size: 640
    .kernarg_segment_align: 8
    .kernarg_segment_size: 392
    .language:       OpenCL C
    .language_version:
      - 2
      - 0
    .max_flat_workgroup_size: 64
    .name:           _ZN9rocsparseL29bsrmmnt_small_blockdim_kernelILj64ELj16ELj2EiiDF16_DF16_ffEEv20rocsparse_direction_T3_S2_llNS_24const_host_device_scalarIT7_EEPKT2_PKS2_PKT4_PKT5_llS5_PT6_ll16rocsparse_order_21rocsparse_index_base_b
    .private_segment_fixed_size: 0
    .sgpr_count:     28
    .sgpr_spill_count: 0
    .symbol:         _ZN9rocsparseL29bsrmmnt_small_blockdim_kernelILj64ELj16ELj2EiiDF16_DF16_ffEEv20rocsparse_direction_T3_S2_llNS_24const_host_device_scalarIT7_EEPKT2_PKS2_PKT4_PKT5_llS5_PT6_ll16rocsparse_order_21rocsparse_index_base_b.kd
    .uniform_work_group_size: 1
    .uses_dynamic_stack: false
    .vgpr_count:     37
    .vgpr_spill_count: 0
    .wavefront_size: 32
    .workgroup_processor_mode: 1
  - .args:
      - .offset:         0
        .size:           4
        .value_kind:     by_value
      - .offset:         4
        .size:           4
        .value_kind:     by_value
      - .offset:         8
        .size:           4
        .value_kind:     by_value
      - .offset:         16
        .size:           8
        .value_kind:     by_value
      - .offset:         24
        .size:           8
        .value_kind:     by_value
      - .offset:         32
        .size:           8
        .value_kind:     by_value
      - .actual_access:  read_only
        .address_space:  global
        .offset:         40
        .size:           8
        .value_kind:     global_buffer
      - .actual_access:  read_only
        .address_space:  global
        .offset:         48
        .size:           8
        .value_kind:     global_buffer
      - .actual_access:  read_only
        .address_space:  global
        .offset:         56
        .size:           8
        .value_kind:     global_buffer
      - .actual_access:  read_only
        .address_space:  global
        .offset:         64
        .size:           8
        .value_kind:     global_buffer
      - .offset:         72
        .size:           8
        .value_kind:     by_value
      - .offset:         80
        .size:           8
        .value_kind:     by_value
      - .offset:         88
        .size:           8
        .value_kind:     by_value
      - .address_space:  global
        .offset:         96
        .size:           8
        .value_kind:     global_buffer
      - .offset:         104
        .size:           8
        .value_kind:     by_value
      - .offset:         112
        .size:           8
        .value_kind:     by_value
      - .offset:         120
        .size:           4
        .value_kind:     by_value
      - .offset:         124
        .size:           4
        .value_kind:     by_value
      - .offset:         128
        .size:           1
        .value_kind:     by_value
      - .offset:         136
        .size:           4
        .value_kind:     hidden_block_count_x
      - .offset:         140
        .size:           4
        .value_kind:     hidden_block_count_y
      - .offset:         144
        .size:           4
        .value_kind:     hidden_block_count_z
      - .offset:         148
        .size:           2
        .value_kind:     hidden_group_size_x
      - .offset:         150
        .size:           2
        .value_kind:     hidden_group_size_y
      - .offset:         152
        .size:           2
        .value_kind:     hidden_group_size_z
      - .offset:         154
        .size:           2
        .value_kind:     hidden_remainder_x
      - .offset:         156
        .size:           2
        .value_kind:     hidden_remainder_y
      - .offset:         158
        .size:           2
        .value_kind:     hidden_remainder_z
      - .offset:         176
        .size:           8
        .value_kind:     hidden_global_offset_x
      - .offset:         184
        .size:           8
        .value_kind:     hidden_global_offset_y
      - .offset:         192
        .size:           8
        .value_kind:     hidden_global_offset_z
      - .offset:         200
        .size:           2
        .value_kind:     hidden_grid_dims
    .group_segment_fixed_size: 640
    .kernarg_segment_align: 8
    .kernarg_segment_size: 392
    .language:       OpenCL C
    .language_version:
      - 2
      - 0
    .max_flat_workgroup_size: 64
    .name:           _ZN9rocsparseL29bsrmmnt_small_blockdim_kernelILj64ELj32ELj2EiiDF16_DF16_ffEEv20rocsparse_direction_T3_S2_llNS_24const_host_device_scalarIT7_EEPKT2_PKS2_PKT4_PKT5_llS5_PT6_ll16rocsparse_order_21rocsparse_index_base_b
    .private_segment_fixed_size: 0
    .sgpr_count:     28
    .sgpr_spill_count: 0
    .symbol:         _ZN9rocsparseL29bsrmmnt_small_blockdim_kernelILj64ELj32ELj2EiiDF16_DF16_ffEEv20rocsparse_direction_T3_S2_llNS_24const_host_device_scalarIT7_EEPKT2_PKS2_PKT4_PKT5_llS5_PT6_ll16rocsparse_order_21rocsparse_index_base_b.kd
    .uniform_work_group_size: 1
    .uses_dynamic_stack: false
    .vgpr_count:     37
    .vgpr_spill_count: 0
    .wavefront_size: 32
    .workgroup_processor_mode: 1
  - .args:
      - .offset:         0
        .size:           4
        .value_kind:     by_value
      - .offset:         4
        .size:           4
        .value_kind:     by_value
      - .offset:         8
        .size:           4
        .value_kind:     by_value
      - .offset:         16
        .size:           8
        .value_kind:     by_value
      - .offset:         24
        .size:           8
        .value_kind:     by_value
      - .offset:         32
        .size:           8
        .value_kind:     by_value
      - .actual_access:  read_only
        .address_space:  global
        .offset:         40
        .size:           8
        .value_kind:     global_buffer
      - .actual_access:  read_only
        .address_space:  global
        .offset:         48
        .size:           8
        .value_kind:     global_buffer
      - .actual_access:  read_only
        .address_space:  global
        .offset:         56
        .size:           8
        .value_kind:     global_buffer
      - .actual_access:  read_only
        .address_space:  global
        .offset:         64
        .size:           8
        .value_kind:     global_buffer
      - .offset:         72
        .size:           8
        .value_kind:     by_value
      - .offset:         80
        .size:           8
        .value_kind:     by_value
      - .offset:         88
        .size:           8
        .value_kind:     by_value
      - .address_space:  global
        .offset:         96
        .size:           8
        .value_kind:     global_buffer
      - .offset:         104
        .size:           8
        .value_kind:     by_value
      - .offset:         112
        .size:           8
        .value_kind:     by_value
      - .offset:         120
        .size:           4
        .value_kind:     by_value
      - .offset:         124
        .size:           4
        .value_kind:     by_value
      - .offset:         128
        .size:           1
        .value_kind:     by_value
      - .offset:         136
        .size:           4
        .value_kind:     hidden_block_count_x
      - .offset:         140
        .size:           4
        .value_kind:     hidden_block_count_y
      - .offset:         144
        .size:           4
        .value_kind:     hidden_block_count_z
      - .offset:         148
        .size:           2
        .value_kind:     hidden_group_size_x
      - .offset:         150
        .size:           2
        .value_kind:     hidden_group_size_y
      - .offset:         152
        .size:           2
        .value_kind:     hidden_group_size_z
      - .offset:         154
        .size:           2
        .value_kind:     hidden_remainder_x
      - .offset:         156
        .size:           2
        .value_kind:     hidden_remainder_y
      - .offset:         158
        .size:           2
        .value_kind:     hidden_remainder_z
      - .offset:         176
        .size:           8
        .value_kind:     hidden_global_offset_x
      - .offset:         184
        .size:           8
        .value_kind:     hidden_global_offset_y
      - .offset:         192
        .size:           8
        .value_kind:     hidden_global_offset_z
      - .offset:         200
        .size:           2
        .value_kind:     hidden_grid_dims
    .group_segment_fixed_size: 640
    .kernarg_segment_align: 8
    .kernarg_segment_size: 392
    .language:       OpenCL C
    .language_version:
      - 2
      - 0
    .max_flat_workgroup_size: 64
    .name:           _ZN9rocsparseL29bsrmmnt_small_blockdim_kernelILj64ELj64ELj2EiiDF16_DF16_ffEEv20rocsparse_direction_T3_S2_llNS_24const_host_device_scalarIT7_EEPKT2_PKS2_PKT4_PKT5_llS5_PT6_ll16rocsparse_order_21rocsparse_index_base_b
    .private_segment_fixed_size: 0
    .sgpr_count:     28
    .sgpr_spill_count: 0
    .symbol:         _ZN9rocsparseL29bsrmmnt_small_blockdim_kernelILj64ELj64ELj2EiiDF16_DF16_ffEEv20rocsparse_direction_T3_S2_llNS_24const_host_device_scalarIT7_EEPKT2_PKS2_PKT4_PKT5_llS5_PT6_ll16rocsparse_order_21rocsparse_index_base_b.kd
    .uniform_work_group_size: 1
    .uses_dynamic_stack: false
    .vgpr_count:     35
    .vgpr_spill_count: 0
    .wavefront_size: 32
    .workgroup_processor_mode: 1
  - .args:
      - .offset:         0
        .size:           4
        .value_kind:     by_value
      - .offset:         4
        .size:           4
        .value_kind:     by_value
      - .offset:         8
        .size:           4
        .value_kind:     by_value
      - .offset:         16
        .size:           8
        .value_kind:     by_value
      - .offset:         24
        .size:           8
        .value_kind:     by_value
      - .offset:         32
        .size:           8
        .value_kind:     by_value
      - .actual_access:  read_only
        .address_space:  global
        .offset:         40
        .size:           8
        .value_kind:     global_buffer
      - .actual_access:  read_only
        .address_space:  global
        .offset:         48
        .size:           8
        .value_kind:     global_buffer
      - .actual_access:  read_only
        .address_space:  global
        .offset:         56
        .size:           8
        .value_kind:     global_buffer
      - .actual_access:  read_only
        .address_space:  global
        .offset:         64
        .size:           8
        .value_kind:     global_buffer
      - .offset:         72
        .size:           8
        .value_kind:     by_value
      - .offset:         80
        .size:           8
        .value_kind:     by_value
      - .offset:         88
        .size:           8
        .value_kind:     by_value
      - .address_space:  global
        .offset:         96
        .size:           8
        .value_kind:     global_buffer
      - .offset:         104
        .size:           8
        .value_kind:     by_value
      - .offset:         112
        .size:           8
        .value_kind:     by_value
      - .offset:         120
        .size:           4
        .value_kind:     by_value
      - .offset:         124
        .size:           4
        .value_kind:     by_value
      - .offset:         128
        .size:           1
        .value_kind:     by_value
      - .offset:         136
        .size:           4
        .value_kind:     hidden_block_count_x
      - .offset:         140
        .size:           4
        .value_kind:     hidden_block_count_y
      - .offset:         144
        .size:           4
        .value_kind:     hidden_block_count_z
      - .offset:         148
        .size:           2
        .value_kind:     hidden_group_size_x
      - .offset:         150
        .size:           2
        .value_kind:     hidden_group_size_y
      - .offset:         152
        .size:           2
        .value_kind:     hidden_group_size_z
      - .offset:         154
        .size:           2
        .value_kind:     hidden_remainder_x
      - .offset:         156
        .size:           2
        .value_kind:     hidden_remainder_y
      - .offset:         158
        .size:           2
        .value_kind:     hidden_remainder_z
      - .offset:         176
        .size:           8
        .value_kind:     hidden_global_offset_x
      - .offset:         184
        .size:           8
        .value_kind:     hidden_global_offset_y
      - .offset:         192
        .size:           8
        .value_kind:     hidden_global_offset_z
      - .offset:         200
        .size:           2
        .value_kind:     hidden_grid_dims
    .group_segment_fixed_size: 640
    .kernarg_segment_align: 8
    .kernarg_segment_size: 392
    .language:       OpenCL C
    .language_version:
      - 2
      - 0
    .max_flat_workgroup_size: 64
    .name:           _ZN9rocsparseL29bsrmmnt_small_blockdim_kernelILj64ELj8ELj2EliDF16_DF16_ffEEv20rocsparse_direction_T3_S2_llNS_24const_host_device_scalarIT7_EEPKT2_PKS2_PKT4_PKT5_llS5_PT6_ll16rocsparse_order_21rocsparse_index_base_b
    .private_segment_fixed_size: 0
    .sgpr_count:     28
    .sgpr_spill_count: 0
    .symbol:         _ZN9rocsparseL29bsrmmnt_small_blockdim_kernelILj64ELj8ELj2EliDF16_DF16_ffEEv20rocsparse_direction_T3_S2_llNS_24const_host_device_scalarIT7_EEPKT2_PKS2_PKT4_PKT5_llS5_PT6_ll16rocsparse_order_21rocsparse_index_base_b.kd
    .uniform_work_group_size: 1
    .uses_dynamic_stack: false
    .vgpr_count:     39
    .vgpr_spill_count: 0
    .wavefront_size: 32
    .workgroup_processor_mode: 1
  - .args:
      - .offset:         0
        .size:           4
        .value_kind:     by_value
      - .offset:         4
        .size:           4
        .value_kind:     by_value
      - .offset:         8
        .size:           4
        .value_kind:     by_value
      - .offset:         16
        .size:           8
        .value_kind:     by_value
      - .offset:         24
        .size:           8
        .value_kind:     by_value
      - .offset:         32
        .size:           8
        .value_kind:     by_value
      - .actual_access:  read_only
        .address_space:  global
        .offset:         40
        .size:           8
        .value_kind:     global_buffer
      - .actual_access:  read_only
        .address_space:  global
        .offset:         48
        .size:           8
        .value_kind:     global_buffer
      - .actual_access:  read_only
        .address_space:  global
        .offset:         56
        .size:           8
        .value_kind:     global_buffer
      - .actual_access:  read_only
        .address_space:  global
        .offset:         64
        .size:           8
        .value_kind:     global_buffer
      - .offset:         72
        .size:           8
        .value_kind:     by_value
      - .offset:         80
        .size:           8
        .value_kind:     by_value
      - .offset:         88
        .size:           8
        .value_kind:     by_value
      - .address_space:  global
        .offset:         96
        .size:           8
        .value_kind:     global_buffer
      - .offset:         104
        .size:           8
        .value_kind:     by_value
      - .offset:         112
        .size:           8
        .value_kind:     by_value
      - .offset:         120
        .size:           4
        .value_kind:     by_value
      - .offset:         124
        .size:           4
        .value_kind:     by_value
      - .offset:         128
        .size:           1
        .value_kind:     by_value
      - .offset:         136
        .size:           4
        .value_kind:     hidden_block_count_x
      - .offset:         140
        .size:           4
        .value_kind:     hidden_block_count_y
      - .offset:         144
        .size:           4
        .value_kind:     hidden_block_count_z
      - .offset:         148
        .size:           2
        .value_kind:     hidden_group_size_x
      - .offset:         150
        .size:           2
        .value_kind:     hidden_group_size_y
      - .offset:         152
        .size:           2
        .value_kind:     hidden_group_size_z
      - .offset:         154
        .size:           2
        .value_kind:     hidden_remainder_x
      - .offset:         156
        .size:           2
        .value_kind:     hidden_remainder_y
      - .offset:         158
        .size:           2
        .value_kind:     hidden_remainder_z
      - .offset:         176
        .size:           8
        .value_kind:     hidden_global_offset_x
      - .offset:         184
        .size:           8
        .value_kind:     hidden_global_offset_y
      - .offset:         192
        .size:           8
        .value_kind:     hidden_global_offset_z
      - .offset:         200
        .size:           2
        .value_kind:     hidden_grid_dims
    .group_segment_fixed_size: 640
    .kernarg_segment_align: 8
    .kernarg_segment_size: 392
    .language:       OpenCL C
    .language_version:
      - 2
      - 0
    .max_flat_workgroup_size: 64
    .name:           _ZN9rocsparseL29bsrmmnt_small_blockdim_kernelILj64ELj16ELj2EliDF16_DF16_ffEEv20rocsparse_direction_T3_S2_llNS_24const_host_device_scalarIT7_EEPKT2_PKS2_PKT4_PKT5_llS5_PT6_ll16rocsparse_order_21rocsparse_index_base_b
    .private_segment_fixed_size: 0
    .sgpr_count:     28
    .sgpr_spill_count: 0
    .symbol:         _ZN9rocsparseL29bsrmmnt_small_blockdim_kernelILj64ELj16ELj2EliDF16_DF16_ffEEv20rocsparse_direction_T3_S2_llNS_24const_host_device_scalarIT7_EEPKT2_PKS2_PKT4_PKT5_llS5_PT6_ll16rocsparse_order_21rocsparse_index_base_b.kd
    .uniform_work_group_size: 1
    .uses_dynamic_stack: false
    .vgpr_count:     39
    .vgpr_spill_count: 0
    .wavefront_size: 32
    .workgroup_processor_mode: 1
  - .args:
      - .offset:         0
        .size:           4
        .value_kind:     by_value
      - .offset:         4
        .size:           4
        .value_kind:     by_value
      - .offset:         8
        .size:           4
        .value_kind:     by_value
      - .offset:         16
        .size:           8
        .value_kind:     by_value
      - .offset:         24
        .size:           8
        .value_kind:     by_value
      - .offset:         32
        .size:           8
        .value_kind:     by_value
      - .actual_access:  read_only
        .address_space:  global
        .offset:         40
        .size:           8
        .value_kind:     global_buffer
      - .actual_access:  read_only
        .address_space:  global
        .offset:         48
        .size:           8
        .value_kind:     global_buffer
      - .actual_access:  read_only
        .address_space:  global
        .offset:         56
        .size:           8
        .value_kind:     global_buffer
      - .actual_access:  read_only
        .address_space:  global
        .offset:         64
        .size:           8
        .value_kind:     global_buffer
      - .offset:         72
        .size:           8
        .value_kind:     by_value
      - .offset:         80
        .size:           8
        .value_kind:     by_value
      - .offset:         88
        .size:           8
        .value_kind:     by_value
      - .address_space:  global
        .offset:         96
        .size:           8
        .value_kind:     global_buffer
      - .offset:         104
        .size:           8
        .value_kind:     by_value
      - .offset:         112
        .size:           8
        .value_kind:     by_value
      - .offset:         120
        .size:           4
        .value_kind:     by_value
      - .offset:         124
        .size:           4
        .value_kind:     by_value
      - .offset:         128
        .size:           1
        .value_kind:     by_value
      - .offset:         136
        .size:           4
        .value_kind:     hidden_block_count_x
      - .offset:         140
        .size:           4
        .value_kind:     hidden_block_count_y
      - .offset:         144
        .size:           4
        .value_kind:     hidden_block_count_z
      - .offset:         148
        .size:           2
        .value_kind:     hidden_group_size_x
      - .offset:         150
        .size:           2
        .value_kind:     hidden_group_size_y
      - .offset:         152
        .size:           2
        .value_kind:     hidden_group_size_z
      - .offset:         154
        .size:           2
        .value_kind:     hidden_remainder_x
      - .offset:         156
        .size:           2
        .value_kind:     hidden_remainder_y
      - .offset:         158
        .size:           2
        .value_kind:     hidden_remainder_z
      - .offset:         176
        .size:           8
        .value_kind:     hidden_global_offset_x
      - .offset:         184
        .size:           8
        .value_kind:     hidden_global_offset_y
      - .offset:         192
        .size:           8
        .value_kind:     hidden_global_offset_z
      - .offset:         200
        .size:           2
        .value_kind:     hidden_grid_dims
    .group_segment_fixed_size: 640
    .kernarg_segment_align: 8
    .kernarg_segment_size: 392
    .language:       OpenCL C
    .language_version:
      - 2
      - 0
    .max_flat_workgroup_size: 64
    .name:           _ZN9rocsparseL29bsrmmnt_small_blockdim_kernelILj64ELj32ELj2EliDF16_DF16_ffEEv20rocsparse_direction_T3_S2_llNS_24const_host_device_scalarIT7_EEPKT2_PKS2_PKT4_PKT5_llS5_PT6_ll16rocsparse_order_21rocsparse_index_base_b
    .private_segment_fixed_size: 0
    .sgpr_count:     28
    .sgpr_spill_count: 0
    .symbol:         _ZN9rocsparseL29bsrmmnt_small_blockdim_kernelILj64ELj32ELj2EliDF16_DF16_ffEEv20rocsparse_direction_T3_S2_llNS_24const_host_device_scalarIT7_EEPKT2_PKS2_PKT4_PKT5_llS5_PT6_ll16rocsparse_order_21rocsparse_index_base_b.kd
    .uniform_work_group_size: 1
    .uses_dynamic_stack: false
    .vgpr_count:     39
    .vgpr_spill_count: 0
    .wavefront_size: 32
    .workgroup_processor_mode: 1
  - .args:
      - .offset:         0
        .size:           4
        .value_kind:     by_value
      - .offset:         4
        .size:           4
        .value_kind:     by_value
      - .offset:         8
        .size:           4
        .value_kind:     by_value
      - .offset:         16
        .size:           8
        .value_kind:     by_value
      - .offset:         24
        .size:           8
        .value_kind:     by_value
      - .offset:         32
        .size:           8
        .value_kind:     by_value
      - .actual_access:  read_only
        .address_space:  global
        .offset:         40
        .size:           8
        .value_kind:     global_buffer
      - .actual_access:  read_only
        .address_space:  global
        .offset:         48
        .size:           8
        .value_kind:     global_buffer
      - .actual_access:  read_only
        .address_space:  global
        .offset:         56
        .size:           8
        .value_kind:     global_buffer
      - .actual_access:  read_only
        .address_space:  global
        .offset:         64
        .size:           8
        .value_kind:     global_buffer
      - .offset:         72
        .size:           8
        .value_kind:     by_value
      - .offset:         80
        .size:           8
        .value_kind:     by_value
      - .offset:         88
        .size:           8
        .value_kind:     by_value
      - .address_space:  global
        .offset:         96
        .size:           8
        .value_kind:     global_buffer
      - .offset:         104
        .size:           8
        .value_kind:     by_value
      - .offset:         112
        .size:           8
        .value_kind:     by_value
      - .offset:         120
        .size:           4
        .value_kind:     by_value
      - .offset:         124
        .size:           4
        .value_kind:     by_value
      - .offset:         128
        .size:           1
        .value_kind:     by_value
      - .offset:         136
        .size:           4
        .value_kind:     hidden_block_count_x
      - .offset:         140
        .size:           4
        .value_kind:     hidden_block_count_y
      - .offset:         144
        .size:           4
        .value_kind:     hidden_block_count_z
      - .offset:         148
        .size:           2
        .value_kind:     hidden_group_size_x
      - .offset:         150
        .size:           2
        .value_kind:     hidden_group_size_y
      - .offset:         152
        .size:           2
        .value_kind:     hidden_group_size_z
      - .offset:         154
        .size:           2
        .value_kind:     hidden_remainder_x
      - .offset:         156
        .size:           2
        .value_kind:     hidden_remainder_y
      - .offset:         158
        .size:           2
        .value_kind:     hidden_remainder_z
      - .offset:         176
        .size:           8
        .value_kind:     hidden_global_offset_x
      - .offset:         184
        .size:           8
        .value_kind:     hidden_global_offset_y
      - .offset:         192
        .size:           8
        .value_kind:     hidden_global_offset_z
      - .offset:         200
        .size:           2
        .value_kind:     hidden_grid_dims
    .group_segment_fixed_size: 640
    .kernarg_segment_align: 8
    .kernarg_segment_size: 392
    .language:       OpenCL C
    .language_version:
      - 2
      - 0
    .max_flat_workgroup_size: 64
    .name:           _ZN9rocsparseL29bsrmmnt_small_blockdim_kernelILj64ELj64ELj2EliDF16_DF16_ffEEv20rocsparse_direction_T3_S2_llNS_24const_host_device_scalarIT7_EEPKT2_PKS2_PKT4_PKT5_llS5_PT6_ll16rocsparse_order_21rocsparse_index_base_b
    .private_segment_fixed_size: 0
    .sgpr_count:     28
    .sgpr_spill_count: 0
    .symbol:         _ZN9rocsparseL29bsrmmnt_small_blockdim_kernelILj64ELj64ELj2EliDF16_DF16_ffEEv20rocsparse_direction_T3_S2_llNS_24const_host_device_scalarIT7_EEPKT2_PKS2_PKT4_PKT5_llS5_PT6_ll16rocsparse_order_21rocsparse_index_base_b.kd
    .uniform_work_group_size: 1
    .uses_dynamic_stack: false
    .vgpr_count:     37
    .vgpr_spill_count: 0
    .wavefront_size: 32
    .workgroup_processor_mode: 1
  - .args:
      - .offset:         0
        .size:           4
        .value_kind:     by_value
      - .offset:         8
        .size:           8
        .value_kind:     by_value
      - .offset:         16
        .size:           8
        .value_kind:     by_value
      - .offset:         24
        .size:           8
        .value_kind:     by_value
      - .offset:         32
        .size:           8
        .value_kind:     by_value
      - .offset:         40
        .size:           8
        .value_kind:     by_value
      - .actual_access:  read_only
        .address_space:  global
        .offset:         48
        .size:           8
        .value_kind:     global_buffer
      - .actual_access:  read_only
        .address_space:  global
        .offset:         56
        .size:           8
        .value_kind:     global_buffer
      - .actual_access:  read_only
        .address_space:  global
        .offset:         64
        .size:           8
        .value_kind:     global_buffer
      - .actual_access:  read_only
        .address_space:  global
        .offset:         72
        .size:           8
        .value_kind:     global_buffer
      - .offset:         80
        .size:           8
        .value_kind:     by_value
      - .offset:         88
        .size:           8
        .value_kind:     by_value
      - .offset:         96
        .size:           8
        .value_kind:     by_value
      - .address_space:  global
        .offset:         104
        .size:           8
        .value_kind:     global_buffer
      - .offset:         112
        .size:           8
        .value_kind:     by_value
      - .offset:         120
        .size:           8
        .value_kind:     by_value
      - .offset:         128
        .size:           4
        .value_kind:     by_value
      - .offset:         132
        .size:           4
        .value_kind:     by_value
      - .offset:         136
        .size:           1
        .value_kind:     by_value
      - .offset:         144
        .size:           4
        .value_kind:     hidden_block_count_x
      - .offset:         148
        .size:           4
        .value_kind:     hidden_block_count_y
      - .offset:         152
        .size:           4
        .value_kind:     hidden_block_count_z
      - .offset:         156
        .size:           2
        .value_kind:     hidden_group_size_x
      - .offset:         158
        .size:           2
        .value_kind:     hidden_group_size_y
      - .offset:         160
        .size:           2
        .value_kind:     hidden_group_size_z
      - .offset:         162
        .size:           2
        .value_kind:     hidden_remainder_x
      - .offset:         164
        .size:           2
        .value_kind:     hidden_remainder_y
      - .offset:         166
        .size:           2
        .value_kind:     hidden_remainder_z
      - .offset:         184
        .size:           8
        .value_kind:     hidden_global_offset_x
      - .offset:         192
        .size:           8
        .value_kind:     hidden_global_offset_y
      - .offset:         200
        .size:           8
        .value_kind:     hidden_global_offset_z
      - .offset:         208
        .size:           2
        .value_kind:     hidden_grid_dims
    .group_segment_fixed_size: 896
    .kernarg_segment_align: 8
    .kernarg_segment_size: 400
    .language:       OpenCL C
    .language_version:
      - 2
      - 0
    .max_flat_workgroup_size: 64
    .name:           _ZN9rocsparseL29bsrmmnt_small_blockdim_kernelILj64ELj8ELj2EllDF16_DF16_ffEEv20rocsparse_direction_T3_S2_llNS_24const_host_device_scalarIT7_EEPKT2_PKS2_PKT4_PKT5_llS5_PT6_ll16rocsparse_order_21rocsparse_index_base_b
    .private_segment_fixed_size: 0
    .sgpr_count:     30
    .sgpr_spill_count: 0
    .symbol:         _ZN9rocsparseL29bsrmmnt_small_blockdim_kernelILj64ELj8ELj2EllDF16_DF16_ffEEv20rocsparse_direction_T3_S2_llNS_24const_host_device_scalarIT7_EEPKT2_PKS2_PKT4_PKT5_llS5_PT6_ll16rocsparse_order_21rocsparse_index_base_b.kd
    .uniform_work_group_size: 1
    .uses_dynamic_stack: false
    .vgpr_count:     32
    .vgpr_spill_count: 0
    .wavefront_size: 32
    .workgroup_processor_mode: 1
  - .args:
      - .offset:         0
        .size:           4
        .value_kind:     by_value
      - .offset:         8
        .size:           8
        .value_kind:     by_value
      - .offset:         16
        .size:           8
        .value_kind:     by_value
      - .offset:         24
        .size:           8
        .value_kind:     by_value
      - .offset:         32
        .size:           8
        .value_kind:     by_value
      - .offset:         40
        .size:           8
        .value_kind:     by_value
      - .actual_access:  read_only
        .address_space:  global
        .offset:         48
        .size:           8
        .value_kind:     global_buffer
      - .actual_access:  read_only
        .address_space:  global
        .offset:         56
        .size:           8
        .value_kind:     global_buffer
      - .actual_access:  read_only
        .address_space:  global
        .offset:         64
        .size:           8
        .value_kind:     global_buffer
      - .actual_access:  read_only
        .address_space:  global
        .offset:         72
        .size:           8
        .value_kind:     global_buffer
      - .offset:         80
        .size:           8
        .value_kind:     by_value
      - .offset:         88
        .size:           8
        .value_kind:     by_value
      - .offset:         96
        .size:           8
        .value_kind:     by_value
      - .address_space:  global
        .offset:         104
        .size:           8
        .value_kind:     global_buffer
      - .offset:         112
        .size:           8
        .value_kind:     by_value
      - .offset:         120
        .size:           8
        .value_kind:     by_value
      - .offset:         128
        .size:           4
        .value_kind:     by_value
      - .offset:         132
        .size:           4
        .value_kind:     by_value
      - .offset:         136
        .size:           1
        .value_kind:     by_value
      - .offset:         144
        .size:           4
        .value_kind:     hidden_block_count_x
      - .offset:         148
        .size:           4
        .value_kind:     hidden_block_count_y
      - .offset:         152
        .size:           4
        .value_kind:     hidden_block_count_z
      - .offset:         156
        .size:           2
        .value_kind:     hidden_group_size_x
      - .offset:         158
        .size:           2
        .value_kind:     hidden_group_size_y
      - .offset:         160
        .size:           2
        .value_kind:     hidden_group_size_z
      - .offset:         162
        .size:           2
        .value_kind:     hidden_remainder_x
      - .offset:         164
        .size:           2
        .value_kind:     hidden_remainder_y
      - .offset:         166
        .size:           2
        .value_kind:     hidden_remainder_z
      - .offset:         184
        .size:           8
        .value_kind:     hidden_global_offset_x
      - .offset:         192
        .size:           8
        .value_kind:     hidden_global_offset_y
      - .offset:         200
        .size:           8
        .value_kind:     hidden_global_offset_z
      - .offset:         208
        .size:           2
        .value_kind:     hidden_grid_dims
    .group_segment_fixed_size: 896
    .kernarg_segment_align: 8
    .kernarg_segment_size: 400
    .language:       OpenCL C
    .language_version:
      - 2
      - 0
    .max_flat_workgroup_size: 64
    .name:           _ZN9rocsparseL29bsrmmnt_small_blockdim_kernelILj64ELj16ELj2EllDF16_DF16_ffEEv20rocsparse_direction_T3_S2_llNS_24const_host_device_scalarIT7_EEPKT2_PKS2_PKT4_PKT5_llS5_PT6_ll16rocsparse_order_21rocsparse_index_base_b
    .private_segment_fixed_size: 0
    .sgpr_count:     30
    .sgpr_spill_count: 0
    .symbol:         _ZN9rocsparseL29bsrmmnt_small_blockdim_kernelILj64ELj16ELj2EllDF16_DF16_ffEEv20rocsparse_direction_T3_S2_llNS_24const_host_device_scalarIT7_EEPKT2_PKS2_PKT4_PKT5_llS5_PT6_ll16rocsparse_order_21rocsparse_index_base_b.kd
    .uniform_work_group_size: 1
    .uses_dynamic_stack: false
    .vgpr_count:     32
    .vgpr_spill_count: 0
    .wavefront_size: 32
    .workgroup_processor_mode: 1
  - .args:
      - .offset:         0
        .size:           4
        .value_kind:     by_value
      - .offset:         8
        .size:           8
        .value_kind:     by_value
      - .offset:         16
        .size:           8
        .value_kind:     by_value
      - .offset:         24
        .size:           8
        .value_kind:     by_value
      - .offset:         32
        .size:           8
        .value_kind:     by_value
      - .offset:         40
        .size:           8
        .value_kind:     by_value
      - .actual_access:  read_only
        .address_space:  global
        .offset:         48
        .size:           8
        .value_kind:     global_buffer
      - .actual_access:  read_only
        .address_space:  global
        .offset:         56
        .size:           8
        .value_kind:     global_buffer
      - .actual_access:  read_only
        .address_space:  global
        .offset:         64
        .size:           8
        .value_kind:     global_buffer
      - .actual_access:  read_only
        .address_space:  global
        .offset:         72
        .size:           8
        .value_kind:     global_buffer
      - .offset:         80
        .size:           8
        .value_kind:     by_value
      - .offset:         88
        .size:           8
        .value_kind:     by_value
      - .offset:         96
        .size:           8
        .value_kind:     by_value
      - .address_space:  global
        .offset:         104
        .size:           8
        .value_kind:     global_buffer
      - .offset:         112
        .size:           8
        .value_kind:     by_value
      - .offset:         120
        .size:           8
        .value_kind:     by_value
      - .offset:         128
        .size:           4
        .value_kind:     by_value
      - .offset:         132
        .size:           4
        .value_kind:     by_value
      - .offset:         136
        .size:           1
        .value_kind:     by_value
      - .offset:         144
        .size:           4
        .value_kind:     hidden_block_count_x
      - .offset:         148
        .size:           4
        .value_kind:     hidden_block_count_y
      - .offset:         152
        .size:           4
        .value_kind:     hidden_block_count_z
      - .offset:         156
        .size:           2
        .value_kind:     hidden_group_size_x
      - .offset:         158
        .size:           2
        .value_kind:     hidden_group_size_y
      - .offset:         160
        .size:           2
        .value_kind:     hidden_group_size_z
      - .offset:         162
        .size:           2
        .value_kind:     hidden_remainder_x
      - .offset:         164
        .size:           2
        .value_kind:     hidden_remainder_y
      - .offset:         166
        .size:           2
        .value_kind:     hidden_remainder_z
      - .offset:         184
        .size:           8
        .value_kind:     hidden_global_offset_x
      - .offset:         192
        .size:           8
        .value_kind:     hidden_global_offset_y
      - .offset:         200
        .size:           8
        .value_kind:     hidden_global_offset_z
      - .offset:         208
        .size:           2
        .value_kind:     hidden_grid_dims
    .group_segment_fixed_size: 896
    .kernarg_segment_align: 8
    .kernarg_segment_size: 400
    .language:       OpenCL C
    .language_version:
      - 2
      - 0
    .max_flat_workgroup_size: 64
    .name:           _ZN9rocsparseL29bsrmmnt_small_blockdim_kernelILj64ELj32ELj2EllDF16_DF16_ffEEv20rocsparse_direction_T3_S2_llNS_24const_host_device_scalarIT7_EEPKT2_PKS2_PKT4_PKT5_llS5_PT6_ll16rocsparse_order_21rocsparse_index_base_b
    .private_segment_fixed_size: 0
    .sgpr_count:     30
    .sgpr_spill_count: 0
    .symbol:         _ZN9rocsparseL29bsrmmnt_small_blockdim_kernelILj64ELj32ELj2EllDF16_DF16_ffEEv20rocsparse_direction_T3_S2_llNS_24const_host_device_scalarIT7_EEPKT2_PKS2_PKT4_PKT5_llS5_PT6_ll16rocsparse_order_21rocsparse_index_base_b.kd
    .uniform_work_group_size: 1
    .uses_dynamic_stack: false
    .vgpr_count:     32
    .vgpr_spill_count: 0
    .wavefront_size: 32
    .workgroup_processor_mode: 1
  - .args:
      - .offset:         0
        .size:           4
        .value_kind:     by_value
      - .offset:         8
        .size:           8
        .value_kind:     by_value
      - .offset:         16
        .size:           8
        .value_kind:     by_value
      - .offset:         24
        .size:           8
        .value_kind:     by_value
      - .offset:         32
        .size:           8
        .value_kind:     by_value
      - .offset:         40
        .size:           8
        .value_kind:     by_value
      - .actual_access:  read_only
        .address_space:  global
        .offset:         48
        .size:           8
        .value_kind:     global_buffer
      - .actual_access:  read_only
        .address_space:  global
        .offset:         56
        .size:           8
        .value_kind:     global_buffer
      - .actual_access:  read_only
        .address_space:  global
        .offset:         64
        .size:           8
        .value_kind:     global_buffer
      - .actual_access:  read_only
        .address_space:  global
        .offset:         72
        .size:           8
        .value_kind:     global_buffer
      - .offset:         80
        .size:           8
        .value_kind:     by_value
      - .offset:         88
        .size:           8
        .value_kind:     by_value
      - .offset:         96
        .size:           8
        .value_kind:     by_value
      - .address_space:  global
        .offset:         104
        .size:           8
        .value_kind:     global_buffer
      - .offset:         112
        .size:           8
        .value_kind:     by_value
      - .offset:         120
        .size:           8
        .value_kind:     by_value
      - .offset:         128
        .size:           4
        .value_kind:     by_value
      - .offset:         132
        .size:           4
        .value_kind:     by_value
      - .offset:         136
        .size:           1
        .value_kind:     by_value
      - .offset:         144
        .size:           4
        .value_kind:     hidden_block_count_x
      - .offset:         148
        .size:           4
        .value_kind:     hidden_block_count_y
      - .offset:         152
        .size:           4
        .value_kind:     hidden_block_count_z
      - .offset:         156
        .size:           2
        .value_kind:     hidden_group_size_x
      - .offset:         158
        .size:           2
        .value_kind:     hidden_group_size_y
      - .offset:         160
        .size:           2
        .value_kind:     hidden_group_size_z
      - .offset:         162
        .size:           2
        .value_kind:     hidden_remainder_x
      - .offset:         164
        .size:           2
        .value_kind:     hidden_remainder_y
      - .offset:         166
        .size:           2
        .value_kind:     hidden_remainder_z
      - .offset:         184
        .size:           8
        .value_kind:     hidden_global_offset_x
      - .offset:         192
        .size:           8
        .value_kind:     hidden_global_offset_y
      - .offset:         200
        .size:           8
        .value_kind:     hidden_global_offset_z
      - .offset:         208
        .size:           2
        .value_kind:     hidden_grid_dims
    .group_segment_fixed_size: 896
    .kernarg_segment_align: 8
    .kernarg_segment_size: 400
    .language:       OpenCL C
    .language_version:
      - 2
      - 0
    .max_flat_workgroup_size: 64
    .name:           _ZN9rocsparseL29bsrmmnt_small_blockdim_kernelILj64ELj64ELj2EllDF16_DF16_ffEEv20rocsparse_direction_T3_S2_llNS_24const_host_device_scalarIT7_EEPKT2_PKS2_PKT4_PKT5_llS5_PT6_ll16rocsparse_order_21rocsparse_index_base_b
    .private_segment_fixed_size: 0
    .sgpr_count:     36
    .sgpr_spill_count: 0
    .symbol:         _ZN9rocsparseL29bsrmmnt_small_blockdim_kernelILj64ELj64ELj2EllDF16_DF16_ffEEv20rocsparse_direction_T3_S2_llNS_24const_host_device_scalarIT7_EEPKT2_PKS2_PKT4_PKT5_llS5_PT6_ll16rocsparse_order_21rocsparse_index_base_b.kd
    .uniform_work_group_size: 1
    .uses_dynamic_stack: false
    .vgpr_count:     28
    .vgpr_spill_count: 0
    .wavefront_size: 32
    .workgroup_processor_mode: 1
  - .args:
      - .offset:         0
        .size:           4
        .value_kind:     by_value
      - .offset:         4
        .size:           4
        .value_kind:     by_value
      - .offset:         8
        .size:           4
        .value_kind:     by_value
      - .offset:         16
        .size:           8
        .value_kind:     by_value
      - .offset:         24
        .size:           8
        .value_kind:     by_value
      - .offset:         32
        .size:           8
        .value_kind:     by_value
      - .actual_access:  read_only
        .address_space:  global
        .offset:         40
        .size:           8
        .value_kind:     global_buffer
      - .actual_access:  read_only
        .address_space:  global
        .offset:         48
        .size:           8
        .value_kind:     global_buffer
      - .actual_access:  read_only
        .address_space:  global
        .offset:         56
        .size:           8
        .value_kind:     global_buffer
      - .actual_access:  read_only
        .address_space:  global
        .offset:         64
        .size:           8
        .value_kind:     global_buffer
      - .offset:         72
        .size:           8
        .value_kind:     by_value
      - .offset:         80
        .size:           8
        .value_kind:     by_value
      - .offset:         88
        .size:           8
        .value_kind:     by_value
      - .address_space:  global
        .offset:         96
        .size:           8
        .value_kind:     global_buffer
      - .offset:         104
        .size:           8
        .value_kind:     by_value
      - .offset:         112
        .size:           8
        .value_kind:     by_value
      - .offset:         120
        .size:           4
        .value_kind:     by_value
      - .offset:         124
        .size:           4
        .value_kind:     by_value
      - .offset:         128
        .size:           1
        .value_kind:     by_value
      - .offset:         136
        .size:           4
        .value_kind:     hidden_block_count_x
      - .offset:         140
        .size:           4
        .value_kind:     hidden_block_count_y
      - .offset:         144
        .size:           4
        .value_kind:     hidden_block_count_z
      - .offset:         148
        .size:           2
        .value_kind:     hidden_group_size_x
      - .offset:         150
        .size:           2
        .value_kind:     hidden_group_size_y
      - .offset:         152
        .size:           2
        .value_kind:     hidden_group_size_z
      - .offset:         154
        .size:           2
        .value_kind:     hidden_remainder_x
      - .offset:         156
        .size:           2
        .value_kind:     hidden_remainder_y
      - .offset:         158
        .size:           2
        .value_kind:     hidden_remainder_z
      - .offset:         176
        .size:           8
        .value_kind:     hidden_global_offset_x
      - .offset:         184
        .size:           8
        .value_kind:     hidden_global_offset_y
      - .offset:         192
        .size:           8
        .value_kind:     hidden_global_offset_z
      - .offset:         200
        .size:           2
        .value_kind:     hidden_grid_dims
    .group_segment_fixed_size: 448
    .kernarg_segment_align: 8
    .kernarg_segment_size: 392
    .language:       OpenCL C
    .language_version:
      - 2
      - 0
    .max_flat_workgroup_size: 64
    .name:           _ZN9rocsparseL29bsrmmnt_small_blockdim_kernelILj64ELj8ELj2EiiaaiiEEv20rocsparse_direction_T3_S2_llNS_24const_host_device_scalarIT7_EEPKT2_PKS2_PKT4_PKT5_llS5_PT6_ll16rocsparse_order_21rocsparse_index_base_b
    .private_segment_fixed_size: 0
    .sgpr_count:     26
    .sgpr_spill_count: 0
    .symbol:         _ZN9rocsparseL29bsrmmnt_small_blockdim_kernelILj64ELj8ELj2EiiaaiiEEv20rocsparse_direction_T3_S2_llNS_24const_host_device_scalarIT7_EEPKT2_PKS2_PKT4_PKT5_llS5_PT6_ll16rocsparse_order_21rocsparse_index_base_b.kd
    .uniform_work_group_size: 1
    .uses_dynamic_stack: false
    .vgpr_count:     36
    .vgpr_spill_count: 0
    .wavefront_size: 32
    .workgroup_processor_mode: 1
  - .args:
      - .offset:         0
        .size:           4
        .value_kind:     by_value
      - .offset:         4
        .size:           4
        .value_kind:     by_value
      - .offset:         8
        .size:           4
        .value_kind:     by_value
      - .offset:         16
        .size:           8
        .value_kind:     by_value
      - .offset:         24
        .size:           8
        .value_kind:     by_value
      - .offset:         32
        .size:           8
        .value_kind:     by_value
      - .actual_access:  read_only
        .address_space:  global
        .offset:         40
        .size:           8
        .value_kind:     global_buffer
      - .actual_access:  read_only
        .address_space:  global
        .offset:         48
        .size:           8
        .value_kind:     global_buffer
      - .actual_access:  read_only
        .address_space:  global
        .offset:         56
        .size:           8
        .value_kind:     global_buffer
      - .actual_access:  read_only
        .address_space:  global
        .offset:         64
        .size:           8
        .value_kind:     global_buffer
      - .offset:         72
        .size:           8
        .value_kind:     by_value
      - .offset:         80
        .size:           8
        .value_kind:     by_value
      - .offset:         88
        .size:           8
        .value_kind:     by_value
      - .address_space:  global
        .offset:         96
        .size:           8
        .value_kind:     global_buffer
      - .offset:         104
        .size:           8
        .value_kind:     by_value
      - .offset:         112
        .size:           8
        .value_kind:     by_value
      - .offset:         120
        .size:           4
        .value_kind:     by_value
      - .offset:         124
        .size:           4
        .value_kind:     by_value
      - .offset:         128
        .size:           1
        .value_kind:     by_value
      - .offset:         136
        .size:           4
        .value_kind:     hidden_block_count_x
      - .offset:         140
        .size:           4
        .value_kind:     hidden_block_count_y
      - .offset:         144
        .size:           4
        .value_kind:     hidden_block_count_z
      - .offset:         148
        .size:           2
        .value_kind:     hidden_group_size_x
      - .offset:         150
        .size:           2
        .value_kind:     hidden_group_size_y
      - .offset:         152
        .size:           2
        .value_kind:     hidden_group_size_z
      - .offset:         154
        .size:           2
        .value_kind:     hidden_remainder_x
      - .offset:         156
        .size:           2
        .value_kind:     hidden_remainder_y
      - .offset:         158
        .size:           2
        .value_kind:     hidden_remainder_z
      - .offset:         176
        .size:           8
        .value_kind:     hidden_global_offset_x
      - .offset:         184
        .size:           8
        .value_kind:     hidden_global_offset_y
      - .offset:         192
        .size:           8
        .value_kind:     hidden_global_offset_z
      - .offset:         200
        .size:           2
        .value_kind:     hidden_grid_dims
    .group_segment_fixed_size: 448
    .kernarg_segment_align: 8
    .kernarg_segment_size: 392
    .language:       OpenCL C
    .language_version:
      - 2
      - 0
    .max_flat_workgroup_size: 64
    .name:           _ZN9rocsparseL29bsrmmnt_small_blockdim_kernelILj64ELj16ELj2EiiaaiiEEv20rocsparse_direction_T3_S2_llNS_24const_host_device_scalarIT7_EEPKT2_PKS2_PKT4_PKT5_llS5_PT6_ll16rocsparse_order_21rocsparse_index_base_b
    .private_segment_fixed_size: 0
    .sgpr_count:     26
    .sgpr_spill_count: 0
    .symbol:         _ZN9rocsparseL29bsrmmnt_small_blockdim_kernelILj64ELj16ELj2EiiaaiiEEv20rocsparse_direction_T3_S2_llNS_24const_host_device_scalarIT7_EEPKT2_PKS2_PKT4_PKT5_llS5_PT6_ll16rocsparse_order_21rocsparse_index_base_b.kd
    .uniform_work_group_size: 1
    .uses_dynamic_stack: false
    .vgpr_count:     36
    .vgpr_spill_count: 0
    .wavefront_size: 32
    .workgroup_processor_mode: 1
  - .args:
      - .offset:         0
        .size:           4
        .value_kind:     by_value
      - .offset:         4
        .size:           4
        .value_kind:     by_value
      - .offset:         8
        .size:           4
        .value_kind:     by_value
      - .offset:         16
        .size:           8
        .value_kind:     by_value
      - .offset:         24
        .size:           8
        .value_kind:     by_value
      - .offset:         32
        .size:           8
        .value_kind:     by_value
      - .actual_access:  read_only
        .address_space:  global
        .offset:         40
        .size:           8
        .value_kind:     global_buffer
      - .actual_access:  read_only
        .address_space:  global
        .offset:         48
        .size:           8
        .value_kind:     global_buffer
      - .actual_access:  read_only
        .address_space:  global
        .offset:         56
        .size:           8
        .value_kind:     global_buffer
      - .actual_access:  read_only
        .address_space:  global
        .offset:         64
        .size:           8
        .value_kind:     global_buffer
      - .offset:         72
        .size:           8
        .value_kind:     by_value
      - .offset:         80
        .size:           8
        .value_kind:     by_value
      - .offset:         88
        .size:           8
        .value_kind:     by_value
      - .address_space:  global
        .offset:         96
        .size:           8
        .value_kind:     global_buffer
      - .offset:         104
        .size:           8
        .value_kind:     by_value
      - .offset:         112
        .size:           8
        .value_kind:     by_value
      - .offset:         120
        .size:           4
        .value_kind:     by_value
      - .offset:         124
        .size:           4
        .value_kind:     by_value
      - .offset:         128
        .size:           1
        .value_kind:     by_value
      - .offset:         136
        .size:           4
        .value_kind:     hidden_block_count_x
      - .offset:         140
        .size:           4
        .value_kind:     hidden_block_count_y
      - .offset:         144
        .size:           4
        .value_kind:     hidden_block_count_z
      - .offset:         148
        .size:           2
        .value_kind:     hidden_group_size_x
      - .offset:         150
        .size:           2
        .value_kind:     hidden_group_size_y
      - .offset:         152
        .size:           2
        .value_kind:     hidden_group_size_z
      - .offset:         154
        .size:           2
        .value_kind:     hidden_remainder_x
      - .offset:         156
        .size:           2
        .value_kind:     hidden_remainder_y
      - .offset:         158
        .size:           2
        .value_kind:     hidden_remainder_z
      - .offset:         176
        .size:           8
        .value_kind:     hidden_global_offset_x
      - .offset:         184
        .size:           8
        .value_kind:     hidden_global_offset_y
      - .offset:         192
        .size:           8
        .value_kind:     hidden_global_offset_z
      - .offset:         200
        .size:           2
        .value_kind:     hidden_grid_dims
    .group_segment_fixed_size: 448
    .kernarg_segment_align: 8
    .kernarg_segment_size: 392
    .language:       OpenCL C
    .language_version:
      - 2
      - 0
    .max_flat_workgroup_size: 64
    .name:           _ZN9rocsparseL29bsrmmnt_small_blockdim_kernelILj64ELj32ELj2EiiaaiiEEv20rocsparse_direction_T3_S2_llNS_24const_host_device_scalarIT7_EEPKT2_PKS2_PKT4_PKT5_llS5_PT6_ll16rocsparse_order_21rocsparse_index_base_b
    .private_segment_fixed_size: 0
    .sgpr_count:     26
    .sgpr_spill_count: 0
    .symbol:         _ZN9rocsparseL29bsrmmnt_small_blockdim_kernelILj64ELj32ELj2EiiaaiiEEv20rocsparse_direction_T3_S2_llNS_24const_host_device_scalarIT7_EEPKT2_PKS2_PKT4_PKT5_llS5_PT6_ll16rocsparse_order_21rocsparse_index_base_b.kd
    .uniform_work_group_size: 1
    .uses_dynamic_stack: false
    .vgpr_count:     36
    .vgpr_spill_count: 0
    .wavefront_size: 32
    .workgroup_processor_mode: 1
  - .args:
      - .offset:         0
        .size:           4
        .value_kind:     by_value
      - .offset:         4
        .size:           4
        .value_kind:     by_value
      - .offset:         8
        .size:           4
        .value_kind:     by_value
      - .offset:         16
        .size:           8
        .value_kind:     by_value
      - .offset:         24
        .size:           8
        .value_kind:     by_value
      - .offset:         32
        .size:           8
        .value_kind:     by_value
      - .actual_access:  read_only
        .address_space:  global
        .offset:         40
        .size:           8
        .value_kind:     global_buffer
      - .actual_access:  read_only
        .address_space:  global
        .offset:         48
        .size:           8
        .value_kind:     global_buffer
      - .actual_access:  read_only
        .address_space:  global
        .offset:         56
        .size:           8
        .value_kind:     global_buffer
      - .actual_access:  read_only
        .address_space:  global
        .offset:         64
        .size:           8
        .value_kind:     global_buffer
      - .offset:         72
        .size:           8
        .value_kind:     by_value
      - .offset:         80
        .size:           8
        .value_kind:     by_value
      - .offset:         88
        .size:           8
        .value_kind:     by_value
      - .address_space:  global
        .offset:         96
        .size:           8
        .value_kind:     global_buffer
      - .offset:         104
        .size:           8
        .value_kind:     by_value
      - .offset:         112
        .size:           8
        .value_kind:     by_value
      - .offset:         120
        .size:           4
        .value_kind:     by_value
      - .offset:         124
        .size:           4
        .value_kind:     by_value
      - .offset:         128
        .size:           1
        .value_kind:     by_value
      - .offset:         136
        .size:           4
        .value_kind:     hidden_block_count_x
      - .offset:         140
        .size:           4
        .value_kind:     hidden_block_count_y
      - .offset:         144
        .size:           4
        .value_kind:     hidden_block_count_z
      - .offset:         148
        .size:           2
        .value_kind:     hidden_group_size_x
      - .offset:         150
        .size:           2
        .value_kind:     hidden_group_size_y
      - .offset:         152
        .size:           2
        .value_kind:     hidden_group_size_z
      - .offset:         154
        .size:           2
        .value_kind:     hidden_remainder_x
      - .offset:         156
        .size:           2
        .value_kind:     hidden_remainder_y
      - .offset:         158
        .size:           2
        .value_kind:     hidden_remainder_z
      - .offset:         176
        .size:           8
        .value_kind:     hidden_global_offset_x
      - .offset:         184
        .size:           8
        .value_kind:     hidden_global_offset_y
      - .offset:         192
        .size:           8
        .value_kind:     hidden_global_offset_z
      - .offset:         200
        .size:           2
        .value_kind:     hidden_grid_dims
    .group_segment_fixed_size: 448
    .kernarg_segment_align: 8
    .kernarg_segment_size: 392
    .language:       OpenCL C
    .language_version:
      - 2
      - 0
    .max_flat_workgroup_size: 64
    .name:           _ZN9rocsparseL29bsrmmnt_small_blockdim_kernelILj64ELj64ELj2EiiaaiiEEv20rocsparse_direction_T3_S2_llNS_24const_host_device_scalarIT7_EEPKT2_PKS2_PKT4_PKT5_llS5_PT6_ll16rocsparse_order_21rocsparse_index_base_b
    .private_segment_fixed_size: 0
    .sgpr_count:     33
    .sgpr_spill_count: 0
    .symbol:         _ZN9rocsparseL29bsrmmnt_small_blockdim_kernelILj64ELj64ELj2EiiaaiiEEv20rocsparse_direction_T3_S2_llNS_24const_host_device_scalarIT7_EEPKT2_PKS2_PKT4_PKT5_llS5_PT6_ll16rocsparse_order_21rocsparse_index_base_b.kd
    .uniform_work_group_size: 1
    .uses_dynamic_stack: false
    .vgpr_count:     26
    .vgpr_spill_count: 0
    .wavefront_size: 32
    .workgroup_processor_mode: 1
  - .args:
      - .offset:         0
        .size:           4
        .value_kind:     by_value
      - .offset:         4
        .size:           4
        .value_kind:     by_value
      - .offset:         8
        .size:           4
        .value_kind:     by_value
      - .offset:         16
        .size:           8
        .value_kind:     by_value
      - .offset:         24
        .size:           8
        .value_kind:     by_value
      - .offset:         32
        .size:           8
        .value_kind:     by_value
      - .actual_access:  read_only
        .address_space:  global
        .offset:         40
        .size:           8
        .value_kind:     global_buffer
      - .actual_access:  read_only
        .address_space:  global
        .offset:         48
        .size:           8
        .value_kind:     global_buffer
      - .actual_access:  read_only
        .address_space:  global
        .offset:         56
        .size:           8
        .value_kind:     global_buffer
      - .actual_access:  read_only
        .address_space:  global
        .offset:         64
        .size:           8
        .value_kind:     global_buffer
      - .offset:         72
        .size:           8
        .value_kind:     by_value
      - .offset:         80
        .size:           8
        .value_kind:     by_value
      - .offset:         88
        .size:           8
        .value_kind:     by_value
      - .address_space:  global
        .offset:         96
        .size:           8
        .value_kind:     global_buffer
      - .offset:         104
        .size:           8
        .value_kind:     by_value
      - .offset:         112
        .size:           8
        .value_kind:     by_value
      - .offset:         120
        .size:           4
        .value_kind:     by_value
      - .offset:         124
        .size:           4
        .value_kind:     by_value
      - .offset:         128
        .size:           1
        .value_kind:     by_value
      - .offset:         136
        .size:           4
        .value_kind:     hidden_block_count_x
      - .offset:         140
        .size:           4
        .value_kind:     hidden_block_count_y
      - .offset:         144
        .size:           4
        .value_kind:     hidden_block_count_z
      - .offset:         148
        .size:           2
        .value_kind:     hidden_group_size_x
      - .offset:         150
        .size:           2
        .value_kind:     hidden_group_size_y
      - .offset:         152
        .size:           2
        .value_kind:     hidden_group_size_z
      - .offset:         154
        .size:           2
        .value_kind:     hidden_remainder_x
      - .offset:         156
        .size:           2
        .value_kind:     hidden_remainder_y
      - .offset:         158
        .size:           2
        .value_kind:     hidden_remainder_z
      - .offset:         176
        .size:           8
        .value_kind:     hidden_global_offset_x
      - .offset:         184
        .size:           8
        .value_kind:     hidden_global_offset_y
      - .offset:         192
        .size:           8
        .value_kind:     hidden_global_offset_z
      - .offset:         200
        .size:           2
        .value_kind:     hidden_grid_dims
    .group_segment_fixed_size: 448
    .kernarg_segment_align: 8
    .kernarg_segment_size: 392
    .language:       OpenCL C
    .language_version:
      - 2
      - 0
    .max_flat_workgroup_size: 64
    .name:           _ZN9rocsparseL29bsrmmnt_small_blockdim_kernelILj64ELj8ELj2EliaaiiEEv20rocsparse_direction_T3_S2_llNS_24const_host_device_scalarIT7_EEPKT2_PKS2_PKT4_PKT5_llS5_PT6_ll16rocsparse_order_21rocsparse_index_base_b
    .private_segment_fixed_size: 0
    .sgpr_count:     26
    .sgpr_spill_count: 0
    .symbol:         _ZN9rocsparseL29bsrmmnt_small_blockdim_kernelILj64ELj8ELj2EliaaiiEEv20rocsparse_direction_T3_S2_llNS_24const_host_device_scalarIT7_EEPKT2_PKS2_PKT4_PKT5_llS5_PT6_ll16rocsparse_order_21rocsparse_index_base_b.kd
    .uniform_work_group_size: 1
    .uses_dynamic_stack: false
    .vgpr_count:     39
    .vgpr_spill_count: 0
    .wavefront_size: 32
    .workgroup_processor_mode: 1
  - .args:
      - .offset:         0
        .size:           4
        .value_kind:     by_value
      - .offset:         4
        .size:           4
        .value_kind:     by_value
      - .offset:         8
        .size:           4
        .value_kind:     by_value
      - .offset:         16
        .size:           8
        .value_kind:     by_value
      - .offset:         24
        .size:           8
        .value_kind:     by_value
      - .offset:         32
        .size:           8
        .value_kind:     by_value
      - .actual_access:  read_only
        .address_space:  global
        .offset:         40
        .size:           8
        .value_kind:     global_buffer
      - .actual_access:  read_only
        .address_space:  global
        .offset:         48
        .size:           8
        .value_kind:     global_buffer
      - .actual_access:  read_only
        .address_space:  global
        .offset:         56
        .size:           8
        .value_kind:     global_buffer
      - .actual_access:  read_only
        .address_space:  global
        .offset:         64
        .size:           8
        .value_kind:     global_buffer
      - .offset:         72
        .size:           8
        .value_kind:     by_value
      - .offset:         80
        .size:           8
        .value_kind:     by_value
      - .offset:         88
        .size:           8
        .value_kind:     by_value
      - .address_space:  global
        .offset:         96
        .size:           8
        .value_kind:     global_buffer
      - .offset:         104
        .size:           8
        .value_kind:     by_value
      - .offset:         112
        .size:           8
        .value_kind:     by_value
      - .offset:         120
        .size:           4
        .value_kind:     by_value
      - .offset:         124
        .size:           4
        .value_kind:     by_value
      - .offset:         128
        .size:           1
        .value_kind:     by_value
      - .offset:         136
        .size:           4
        .value_kind:     hidden_block_count_x
      - .offset:         140
        .size:           4
        .value_kind:     hidden_block_count_y
      - .offset:         144
        .size:           4
        .value_kind:     hidden_block_count_z
      - .offset:         148
        .size:           2
        .value_kind:     hidden_group_size_x
      - .offset:         150
        .size:           2
        .value_kind:     hidden_group_size_y
      - .offset:         152
        .size:           2
        .value_kind:     hidden_group_size_z
      - .offset:         154
        .size:           2
        .value_kind:     hidden_remainder_x
      - .offset:         156
        .size:           2
        .value_kind:     hidden_remainder_y
      - .offset:         158
        .size:           2
        .value_kind:     hidden_remainder_z
      - .offset:         176
        .size:           8
        .value_kind:     hidden_global_offset_x
      - .offset:         184
        .size:           8
        .value_kind:     hidden_global_offset_y
      - .offset:         192
        .size:           8
        .value_kind:     hidden_global_offset_z
      - .offset:         200
        .size:           2
        .value_kind:     hidden_grid_dims
    .group_segment_fixed_size: 448
    .kernarg_segment_align: 8
    .kernarg_segment_size: 392
    .language:       OpenCL C
    .language_version:
      - 2
      - 0
    .max_flat_workgroup_size: 64
    .name:           _ZN9rocsparseL29bsrmmnt_small_blockdim_kernelILj64ELj16ELj2EliaaiiEEv20rocsparse_direction_T3_S2_llNS_24const_host_device_scalarIT7_EEPKT2_PKS2_PKT4_PKT5_llS5_PT6_ll16rocsparse_order_21rocsparse_index_base_b
    .private_segment_fixed_size: 0
    .sgpr_count:     26
    .sgpr_spill_count: 0
    .symbol:         _ZN9rocsparseL29bsrmmnt_small_blockdim_kernelILj64ELj16ELj2EliaaiiEEv20rocsparse_direction_T3_S2_llNS_24const_host_device_scalarIT7_EEPKT2_PKS2_PKT4_PKT5_llS5_PT6_ll16rocsparse_order_21rocsparse_index_base_b.kd
    .uniform_work_group_size: 1
    .uses_dynamic_stack: false
    .vgpr_count:     39
    .vgpr_spill_count: 0
    .wavefront_size: 32
    .workgroup_processor_mode: 1
  - .args:
      - .offset:         0
        .size:           4
        .value_kind:     by_value
      - .offset:         4
        .size:           4
        .value_kind:     by_value
      - .offset:         8
        .size:           4
        .value_kind:     by_value
      - .offset:         16
        .size:           8
        .value_kind:     by_value
      - .offset:         24
        .size:           8
        .value_kind:     by_value
      - .offset:         32
        .size:           8
        .value_kind:     by_value
      - .actual_access:  read_only
        .address_space:  global
        .offset:         40
        .size:           8
        .value_kind:     global_buffer
      - .actual_access:  read_only
        .address_space:  global
        .offset:         48
        .size:           8
        .value_kind:     global_buffer
      - .actual_access:  read_only
        .address_space:  global
        .offset:         56
        .size:           8
        .value_kind:     global_buffer
      - .actual_access:  read_only
        .address_space:  global
        .offset:         64
        .size:           8
        .value_kind:     global_buffer
      - .offset:         72
        .size:           8
        .value_kind:     by_value
      - .offset:         80
        .size:           8
        .value_kind:     by_value
      - .offset:         88
        .size:           8
        .value_kind:     by_value
      - .address_space:  global
        .offset:         96
        .size:           8
        .value_kind:     global_buffer
      - .offset:         104
        .size:           8
        .value_kind:     by_value
      - .offset:         112
        .size:           8
        .value_kind:     by_value
      - .offset:         120
        .size:           4
        .value_kind:     by_value
      - .offset:         124
        .size:           4
        .value_kind:     by_value
      - .offset:         128
        .size:           1
        .value_kind:     by_value
      - .offset:         136
        .size:           4
        .value_kind:     hidden_block_count_x
      - .offset:         140
        .size:           4
        .value_kind:     hidden_block_count_y
      - .offset:         144
        .size:           4
        .value_kind:     hidden_block_count_z
      - .offset:         148
        .size:           2
        .value_kind:     hidden_group_size_x
      - .offset:         150
        .size:           2
        .value_kind:     hidden_group_size_y
      - .offset:         152
        .size:           2
        .value_kind:     hidden_group_size_z
      - .offset:         154
        .size:           2
        .value_kind:     hidden_remainder_x
      - .offset:         156
        .size:           2
        .value_kind:     hidden_remainder_y
      - .offset:         158
        .size:           2
        .value_kind:     hidden_remainder_z
      - .offset:         176
        .size:           8
        .value_kind:     hidden_global_offset_x
      - .offset:         184
        .size:           8
        .value_kind:     hidden_global_offset_y
      - .offset:         192
        .size:           8
        .value_kind:     hidden_global_offset_z
      - .offset:         200
        .size:           2
        .value_kind:     hidden_grid_dims
    .group_segment_fixed_size: 448
    .kernarg_segment_align: 8
    .kernarg_segment_size: 392
    .language:       OpenCL C
    .language_version:
      - 2
      - 0
    .max_flat_workgroup_size: 64
    .name:           _ZN9rocsparseL29bsrmmnt_small_blockdim_kernelILj64ELj32ELj2EliaaiiEEv20rocsparse_direction_T3_S2_llNS_24const_host_device_scalarIT7_EEPKT2_PKS2_PKT4_PKT5_llS5_PT6_ll16rocsparse_order_21rocsparse_index_base_b
    .private_segment_fixed_size: 0
    .sgpr_count:     26
    .sgpr_spill_count: 0
    .symbol:         _ZN9rocsparseL29bsrmmnt_small_blockdim_kernelILj64ELj32ELj2EliaaiiEEv20rocsparse_direction_T3_S2_llNS_24const_host_device_scalarIT7_EEPKT2_PKS2_PKT4_PKT5_llS5_PT6_ll16rocsparse_order_21rocsparse_index_base_b.kd
    .uniform_work_group_size: 1
    .uses_dynamic_stack: false
    .vgpr_count:     39
    .vgpr_spill_count: 0
    .wavefront_size: 32
    .workgroup_processor_mode: 1
  - .args:
      - .offset:         0
        .size:           4
        .value_kind:     by_value
      - .offset:         4
        .size:           4
        .value_kind:     by_value
      - .offset:         8
        .size:           4
        .value_kind:     by_value
      - .offset:         16
        .size:           8
        .value_kind:     by_value
      - .offset:         24
        .size:           8
        .value_kind:     by_value
      - .offset:         32
        .size:           8
        .value_kind:     by_value
      - .actual_access:  read_only
        .address_space:  global
        .offset:         40
        .size:           8
        .value_kind:     global_buffer
      - .actual_access:  read_only
        .address_space:  global
        .offset:         48
        .size:           8
        .value_kind:     global_buffer
      - .actual_access:  read_only
        .address_space:  global
        .offset:         56
        .size:           8
        .value_kind:     global_buffer
      - .actual_access:  read_only
        .address_space:  global
        .offset:         64
        .size:           8
        .value_kind:     global_buffer
      - .offset:         72
        .size:           8
        .value_kind:     by_value
      - .offset:         80
        .size:           8
        .value_kind:     by_value
      - .offset:         88
        .size:           8
        .value_kind:     by_value
      - .address_space:  global
        .offset:         96
        .size:           8
        .value_kind:     global_buffer
      - .offset:         104
        .size:           8
        .value_kind:     by_value
      - .offset:         112
        .size:           8
        .value_kind:     by_value
      - .offset:         120
        .size:           4
        .value_kind:     by_value
      - .offset:         124
        .size:           4
        .value_kind:     by_value
      - .offset:         128
        .size:           1
        .value_kind:     by_value
      - .offset:         136
        .size:           4
        .value_kind:     hidden_block_count_x
      - .offset:         140
        .size:           4
        .value_kind:     hidden_block_count_y
      - .offset:         144
        .size:           4
        .value_kind:     hidden_block_count_z
      - .offset:         148
        .size:           2
        .value_kind:     hidden_group_size_x
      - .offset:         150
        .size:           2
        .value_kind:     hidden_group_size_y
      - .offset:         152
        .size:           2
        .value_kind:     hidden_group_size_z
      - .offset:         154
        .size:           2
        .value_kind:     hidden_remainder_x
      - .offset:         156
        .size:           2
        .value_kind:     hidden_remainder_y
      - .offset:         158
        .size:           2
        .value_kind:     hidden_remainder_z
      - .offset:         176
        .size:           8
        .value_kind:     hidden_global_offset_x
      - .offset:         184
        .size:           8
        .value_kind:     hidden_global_offset_y
      - .offset:         192
        .size:           8
        .value_kind:     hidden_global_offset_z
      - .offset:         200
        .size:           2
        .value_kind:     hidden_grid_dims
    .group_segment_fixed_size: 448
    .kernarg_segment_align: 8
    .kernarg_segment_size: 392
    .language:       OpenCL C
    .language_version:
      - 2
      - 0
    .max_flat_workgroup_size: 64
    .name:           _ZN9rocsparseL29bsrmmnt_small_blockdim_kernelILj64ELj64ELj2EliaaiiEEv20rocsparse_direction_T3_S2_llNS_24const_host_device_scalarIT7_EEPKT2_PKS2_PKT4_PKT5_llS5_PT6_ll16rocsparse_order_21rocsparse_index_base_b
    .private_segment_fixed_size: 0
    .sgpr_count:     33
    .sgpr_spill_count: 0
    .symbol:         _ZN9rocsparseL29bsrmmnt_small_blockdim_kernelILj64ELj64ELj2EliaaiiEEv20rocsparse_direction_T3_S2_llNS_24const_host_device_scalarIT7_EEPKT2_PKS2_PKT4_PKT5_llS5_PT6_ll16rocsparse_order_21rocsparse_index_base_b.kd
    .uniform_work_group_size: 1
    .uses_dynamic_stack: false
    .vgpr_count:     29
    .vgpr_spill_count: 0
    .wavefront_size: 32
    .workgroup_processor_mode: 1
  - .args:
      - .offset:         0
        .size:           4
        .value_kind:     by_value
      - .offset:         8
        .size:           8
        .value_kind:     by_value
      - .offset:         16
        .size:           8
        .value_kind:     by_value
      - .offset:         24
        .size:           8
        .value_kind:     by_value
      - .offset:         32
        .size:           8
        .value_kind:     by_value
      - .offset:         40
        .size:           8
        .value_kind:     by_value
      - .actual_access:  read_only
        .address_space:  global
        .offset:         48
        .size:           8
        .value_kind:     global_buffer
      - .actual_access:  read_only
        .address_space:  global
        .offset:         56
        .size:           8
        .value_kind:     global_buffer
      - .actual_access:  read_only
        .address_space:  global
        .offset:         64
        .size:           8
        .value_kind:     global_buffer
      - .actual_access:  read_only
        .address_space:  global
        .offset:         72
        .size:           8
        .value_kind:     global_buffer
      - .offset:         80
        .size:           8
        .value_kind:     by_value
      - .offset:         88
        .size:           8
        .value_kind:     by_value
      - .offset:         96
        .size:           8
        .value_kind:     by_value
      - .address_space:  global
        .offset:         104
        .size:           8
        .value_kind:     global_buffer
      - .offset:         112
        .size:           8
        .value_kind:     by_value
      - .offset:         120
        .size:           8
        .value_kind:     by_value
      - .offset:         128
        .size:           4
        .value_kind:     by_value
      - .offset:         132
        .size:           4
        .value_kind:     by_value
      - .offset:         136
        .size:           1
        .value_kind:     by_value
      - .offset:         144
        .size:           4
        .value_kind:     hidden_block_count_x
      - .offset:         148
        .size:           4
        .value_kind:     hidden_block_count_y
      - .offset:         152
        .size:           4
        .value_kind:     hidden_block_count_z
      - .offset:         156
        .size:           2
        .value_kind:     hidden_group_size_x
      - .offset:         158
        .size:           2
        .value_kind:     hidden_group_size_y
      - .offset:         160
        .size:           2
        .value_kind:     hidden_group_size_z
      - .offset:         162
        .size:           2
        .value_kind:     hidden_remainder_x
      - .offset:         164
        .size:           2
        .value_kind:     hidden_remainder_y
      - .offset:         166
        .size:           2
        .value_kind:     hidden_remainder_z
      - .offset:         184
        .size:           8
        .value_kind:     hidden_global_offset_x
      - .offset:         192
        .size:           8
        .value_kind:     hidden_global_offset_y
      - .offset:         200
        .size:           8
        .value_kind:     hidden_global_offset_z
      - .offset:         208
        .size:           2
        .value_kind:     hidden_grid_dims
    .group_segment_fixed_size: 704
    .kernarg_segment_align: 8
    .kernarg_segment_size: 400
    .language:       OpenCL C
    .language_version:
      - 2
      - 0
    .max_flat_workgroup_size: 64
    .name:           _ZN9rocsparseL29bsrmmnt_small_blockdim_kernelILj64ELj8ELj2EllaaiiEEv20rocsparse_direction_T3_S2_llNS_24const_host_device_scalarIT7_EEPKT2_PKS2_PKT4_PKT5_llS5_PT6_ll16rocsparse_order_21rocsparse_index_base_b
    .private_segment_fixed_size: 0
    .sgpr_count:     29
    .sgpr_spill_count: 0
    .symbol:         _ZN9rocsparseL29bsrmmnt_small_blockdim_kernelILj64ELj8ELj2EllaaiiEEv20rocsparse_direction_T3_S2_llNS_24const_host_device_scalarIT7_EEPKT2_PKS2_PKT4_PKT5_llS5_PT6_ll16rocsparse_order_21rocsparse_index_base_b.kd
    .uniform_work_group_size: 1
    .uses_dynamic_stack: false
    .vgpr_count:     32
    .vgpr_spill_count: 0
    .wavefront_size: 32
    .workgroup_processor_mode: 1
  - .args:
      - .offset:         0
        .size:           4
        .value_kind:     by_value
      - .offset:         8
        .size:           8
        .value_kind:     by_value
      - .offset:         16
        .size:           8
        .value_kind:     by_value
      - .offset:         24
        .size:           8
        .value_kind:     by_value
      - .offset:         32
        .size:           8
        .value_kind:     by_value
      - .offset:         40
        .size:           8
        .value_kind:     by_value
      - .actual_access:  read_only
        .address_space:  global
        .offset:         48
        .size:           8
        .value_kind:     global_buffer
      - .actual_access:  read_only
        .address_space:  global
        .offset:         56
        .size:           8
        .value_kind:     global_buffer
      - .actual_access:  read_only
        .address_space:  global
        .offset:         64
        .size:           8
        .value_kind:     global_buffer
      - .actual_access:  read_only
        .address_space:  global
        .offset:         72
        .size:           8
        .value_kind:     global_buffer
      - .offset:         80
        .size:           8
        .value_kind:     by_value
      - .offset:         88
        .size:           8
        .value_kind:     by_value
      - .offset:         96
        .size:           8
        .value_kind:     by_value
      - .address_space:  global
        .offset:         104
        .size:           8
        .value_kind:     global_buffer
      - .offset:         112
        .size:           8
        .value_kind:     by_value
      - .offset:         120
        .size:           8
        .value_kind:     by_value
      - .offset:         128
        .size:           4
        .value_kind:     by_value
      - .offset:         132
        .size:           4
        .value_kind:     by_value
      - .offset:         136
        .size:           1
        .value_kind:     by_value
      - .offset:         144
        .size:           4
        .value_kind:     hidden_block_count_x
      - .offset:         148
        .size:           4
        .value_kind:     hidden_block_count_y
      - .offset:         152
        .size:           4
        .value_kind:     hidden_block_count_z
      - .offset:         156
        .size:           2
        .value_kind:     hidden_group_size_x
      - .offset:         158
        .size:           2
        .value_kind:     hidden_group_size_y
      - .offset:         160
        .size:           2
        .value_kind:     hidden_group_size_z
      - .offset:         162
        .size:           2
        .value_kind:     hidden_remainder_x
      - .offset:         164
        .size:           2
        .value_kind:     hidden_remainder_y
      - .offset:         166
        .size:           2
        .value_kind:     hidden_remainder_z
      - .offset:         184
        .size:           8
        .value_kind:     hidden_global_offset_x
      - .offset:         192
        .size:           8
        .value_kind:     hidden_global_offset_y
      - .offset:         200
        .size:           8
        .value_kind:     hidden_global_offset_z
      - .offset:         208
        .size:           2
        .value_kind:     hidden_grid_dims
    .group_segment_fixed_size: 704
    .kernarg_segment_align: 8
    .kernarg_segment_size: 400
    .language:       OpenCL C
    .language_version:
      - 2
      - 0
    .max_flat_workgroup_size: 64
    .name:           _ZN9rocsparseL29bsrmmnt_small_blockdim_kernelILj64ELj16ELj2EllaaiiEEv20rocsparse_direction_T3_S2_llNS_24const_host_device_scalarIT7_EEPKT2_PKS2_PKT4_PKT5_llS5_PT6_ll16rocsparse_order_21rocsparse_index_base_b
    .private_segment_fixed_size: 0
    .sgpr_count:     29
    .sgpr_spill_count: 0
    .symbol:         _ZN9rocsparseL29bsrmmnt_small_blockdim_kernelILj64ELj16ELj2EllaaiiEEv20rocsparse_direction_T3_S2_llNS_24const_host_device_scalarIT7_EEPKT2_PKS2_PKT4_PKT5_llS5_PT6_ll16rocsparse_order_21rocsparse_index_base_b.kd
    .uniform_work_group_size: 1
    .uses_dynamic_stack: false
    .vgpr_count:     32
    .vgpr_spill_count: 0
    .wavefront_size: 32
    .workgroup_processor_mode: 1
  - .args:
      - .offset:         0
        .size:           4
        .value_kind:     by_value
      - .offset:         8
        .size:           8
        .value_kind:     by_value
      - .offset:         16
        .size:           8
        .value_kind:     by_value
      - .offset:         24
        .size:           8
        .value_kind:     by_value
      - .offset:         32
        .size:           8
        .value_kind:     by_value
      - .offset:         40
        .size:           8
        .value_kind:     by_value
      - .actual_access:  read_only
        .address_space:  global
        .offset:         48
        .size:           8
        .value_kind:     global_buffer
      - .actual_access:  read_only
        .address_space:  global
        .offset:         56
        .size:           8
        .value_kind:     global_buffer
      - .actual_access:  read_only
        .address_space:  global
        .offset:         64
        .size:           8
        .value_kind:     global_buffer
      - .actual_access:  read_only
        .address_space:  global
        .offset:         72
        .size:           8
        .value_kind:     global_buffer
      - .offset:         80
        .size:           8
        .value_kind:     by_value
      - .offset:         88
        .size:           8
        .value_kind:     by_value
      - .offset:         96
        .size:           8
        .value_kind:     by_value
      - .address_space:  global
        .offset:         104
        .size:           8
        .value_kind:     global_buffer
      - .offset:         112
        .size:           8
        .value_kind:     by_value
      - .offset:         120
        .size:           8
        .value_kind:     by_value
      - .offset:         128
        .size:           4
        .value_kind:     by_value
      - .offset:         132
        .size:           4
        .value_kind:     by_value
      - .offset:         136
        .size:           1
        .value_kind:     by_value
      - .offset:         144
        .size:           4
        .value_kind:     hidden_block_count_x
      - .offset:         148
        .size:           4
        .value_kind:     hidden_block_count_y
      - .offset:         152
        .size:           4
        .value_kind:     hidden_block_count_z
      - .offset:         156
        .size:           2
        .value_kind:     hidden_group_size_x
      - .offset:         158
        .size:           2
        .value_kind:     hidden_group_size_y
      - .offset:         160
        .size:           2
        .value_kind:     hidden_group_size_z
      - .offset:         162
        .size:           2
        .value_kind:     hidden_remainder_x
      - .offset:         164
        .size:           2
        .value_kind:     hidden_remainder_y
      - .offset:         166
        .size:           2
        .value_kind:     hidden_remainder_z
      - .offset:         184
        .size:           8
        .value_kind:     hidden_global_offset_x
      - .offset:         192
        .size:           8
        .value_kind:     hidden_global_offset_y
      - .offset:         200
        .size:           8
        .value_kind:     hidden_global_offset_z
      - .offset:         208
        .size:           2
        .value_kind:     hidden_grid_dims
    .group_segment_fixed_size: 704
    .kernarg_segment_align: 8
    .kernarg_segment_size: 400
    .language:       OpenCL C
    .language_version:
      - 2
      - 0
    .max_flat_workgroup_size: 64
    .name:           _ZN9rocsparseL29bsrmmnt_small_blockdim_kernelILj64ELj32ELj2EllaaiiEEv20rocsparse_direction_T3_S2_llNS_24const_host_device_scalarIT7_EEPKT2_PKS2_PKT4_PKT5_llS5_PT6_ll16rocsparse_order_21rocsparse_index_base_b
    .private_segment_fixed_size: 0
    .sgpr_count:     29
    .sgpr_spill_count: 0
    .symbol:         _ZN9rocsparseL29bsrmmnt_small_blockdim_kernelILj64ELj32ELj2EllaaiiEEv20rocsparse_direction_T3_S2_llNS_24const_host_device_scalarIT7_EEPKT2_PKS2_PKT4_PKT5_llS5_PT6_ll16rocsparse_order_21rocsparse_index_base_b.kd
    .uniform_work_group_size: 1
    .uses_dynamic_stack: false
    .vgpr_count:     32
    .vgpr_spill_count: 0
    .wavefront_size: 32
    .workgroup_processor_mode: 1
  - .args:
      - .offset:         0
        .size:           4
        .value_kind:     by_value
      - .offset:         8
        .size:           8
        .value_kind:     by_value
      - .offset:         16
        .size:           8
        .value_kind:     by_value
      - .offset:         24
        .size:           8
        .value_kind:     by_value
      - .offset:         32
        .size:           8
        .value_kind:     by_value
      - .offset:         40
        .size:           8
        .value_kind:     by_value
      - .actual_access:  read_only
        .address_space:  global
        .offset:         48
        .size:           8
        .value_kind:     global_buffer
      - .actual_access:  read_only
        .address_space:  global
        .offset:         56
        .size:           8
        .value_kind:     global_buffer
      - .actual_access:  read_only
        .address_space:  global
        .offset:         64
        .size:           8
        .value_kind:     global_buffer
      - .actual_access:  read_only
        .address_space:  global
        .offset:         72
        .size:           8
        .value_kind:     global_buffer
      - .offset:         80
        .size:           8
        .value_kind:     by_value
      - .offset:         88
        .size:           8
        .value_kind:     by_value
      - .offset:         96
        .size:           8
        .value_kind:     by_value
      - .address_space:  global
        .offset:         104
        .size:           8
        .value_kind:     global_buffer
      - .offset:         112
        .size:           8
        .value_kind:     by_value
      - .offset:         120
        .size:           8
        .value_kind:     by_value
      - .offset:         128
        .size:           4
        .value_kind:     by_value
      - .offset:         132
        .size:           4
        .value_kind:     by_value
      - .offset:         136
        .size:           1
        .value_kind:     by_value
      - .offset:         144
        .size:           4
        .value_kind:     hidden_block_count_x
      - .offset:         148
        .size:           4
        .value_kind:     hidden_block_count_y
      - .offset:         152
        .size:           4
        .value_kind:     hidden_block_count_z
      - .offset:         156
        .size:           2
        .value_kind:     hidden_group_size_x
      - .offset:         158
        .size:           2
        .value_kind:     hidden_group_size_y
      - .offset:         160
        .size:           2
        .value_kind:     hidden_group_size_z
      - .offset:         162
        .size:           2
        .value_kind:     hidden_remainder_x
      - .offset:         164
        .size:           2
        .value_kind:     hidden_remainder_y
      - .offset:         166
        .size:           2
        .value_kind:     hidden_remainder_z
      - .offset:         184
        .size:           8
        .value_kind:     hidden_global_offset_x
      - .offset:         192
        .size:           8
        .value_kind:     hidden_global_offset_y
      - .offset:         200
        .size:           8
        .value_kind:     hidden_global_offset_z
      - .offset:         208
        .size:           2
        .value_kind:     hidden_grid_dims
    .group_segment_fixed_size: 704
    .kernarg_segment_align: 8
    .kernarg_segment_size: 400
    .language:       OpenCL C
    .language_version:
      - 2
      - 0
    .max_flat_workgroup_size: 64
    .name:           _ZN9rocsparseL29bsrmmnt_small_blockdim_kernelILj64ELj64ELj2EllaaiiEEv20rocsparse_direction_T3_S2_llNS_24const_host_device_scalarIT7_EEPKT2_PKS2_PKT4_PKT5_llS5_PT6_ll16rocsparse_order_21rocsparse_index_base_b
    .private_segment_fixed_size: 0
    .sgpr_count:     29
    .sgpr_spill_count: 0
    .symbol:         _ZN9rocsparseL29bsrmmnt_small_blockdim_kernelILj64ELj64ELj2EllaaiiEEv20rocsparse_direction_T3_S2_llNS_24const_host_device_scalarIT7_EEPKT2_PKS2_PKT4_PKT5_llS5_PT6_ll16rocsparse_order_21rocsparse_index_base_b.kd
    .uniform_work_group_size: 1
    .uses_dynamic_stack: false
    .vgpr_count:     30
    .vgpr_spill_count: 0
    .wavefront_size: 32
    .workgroup_processor_mode: 1
  - .args:
      - .offset:         0
        .size:           4
        .value_kind:     by_value
      - .offset:         4
        .size:           4
        .value_kind:     by_value
      - .offset:         8
        .size:           4
        .value_kind:     by_value
      - .offset:         16
        .size:           8
        .value_kind:     by_value
      - .offset:         24
        .size:           8
        .value_kind:     by_value
      - .offset:         32
        .size:           8
        .value_kind:     by_value
      - .actual_access:  read_only
        .address_space:  global
        .offset:         40
        .size:           8
        .value_kind:     global_buffer
      - .actual_access:  read_only
        .address_space:  global
        .offset:         48
        .size:           8
        .value_kind:     global_buffer
      - .actual_access:  read_only
        .address_space:  global
        .offset:         56
        .size:           8
        .value_kind:     global_buffer
      - .actual_access:  read_only
        .address_space:  global
        .offset:         64
        .size:           8
        .value_kind:     global_buffer
      - .offset:         72
        .size:           8
        .value_kind:     by_value
      - .offset:         80
        .size:           8
        .value_kind:     by_value
      - .offset:         88
        .size:           8
        .value_kind:     by_value
      - .address_space:  global
        .offset:         96
        .size:           8
        .value_kind:     global_buffer
      - .offset:         104
        .size:           8
        .value_kind:     by_value
      - .offset:         112
        .size:           8
        .value_kind:     by_value
      - .offset:         120
        .size:           4
        .value_kind:     by_value
      - .offset:         124
        .size:           4
        .value_kind:     by_value
      - .offset:         128
        .size:           1
        .value_kind:     by_value
      - .offset:         136
        .size:           4
        .value_kind:     hidden_block_count_x
      - .offset:         140
        .size:           4
        .value_kind:     hidden_block_count_y
      - .offset:         144
        .size:           4
        .value_kind:     hidden_block_count_z
      - .offset:         148
        .size:           2
        .value_kind:     hidden_group_size_x
      - .offset:         150
        .size:           2
        .value_kind:     hidden_group_size_y
      - .offset:         152
        .size:           2
        .value_kind:     hidden_group_size_z
      - .offset:         154
        .size:           2
        .value_kind:     hidden_remainder_x
      - .offset:         156
        .size:           2
        .value_kind:     hidden_remainder_y
      - .offset:         158
        .size:           2
        .value_kind:     hidden_remainder_z
      - .offset:         176
        .size:           8
        .value_kind:     hidden_global_offset_x
      - .offset:         184
        .size:           8
        .value_kind:     hidden_global_offset_y
      - .offset:         192
        .size:           8
        .value_kind:     hidden_global_offset_z
      - .offset:         200
        .size:           2
        .value_kind:     hidden_grid_dims
    .group_segment_fixed_size: 448
    .kernarg_segment_align: 8
    .kernarg_segment_size: 392
    .language:       OpenCL C
    .language_version:
      - 2
      - 0
    .max_flat_workgroup_size: 64
    .name:           _ZN9rocsparseL29bsrmmnt_small_blockdim_kernelILj64ELj8ELj2EiiaaffEEv20rocsparse_direction_T3_S2_llNS_24const_host_device_scalarIT7_EEPKT2_PKS2_PKT4_PKT5_llS5_PT6_ll16rocsparse_order_21rocsparse_index_base_b
    .private_segment_fixed_size: 0
    .sgpr_count:     28
    .sgpr_spill_count: 0
    .symbol:         _ZN9rocsparseL29bsrmmnt_small_blockdim_kernelILj64ELj8ELj2EiiaaffEEv20rocsparse_direction_T3_S2_llNS_24const_host_device_scalarIT7_EEPKT2_PKS2_PKT4_PKT5_llS5_PT6_ll16rocsparse_order_21rocsparse_index_base_b.kd
    .uniform_work_group_size: 1
    .uses_dynamic_stack: false
    .vgpr_count:     35
    .vgpr_spill_count: 0
    .wavefront_size: 32
    .workgroup_processor_mode: 1
  - .args:
      - .offset:         0
        .size:           4
        .value_kind:     by_value
      - .offset:         4
        .size:           4
        .value_kind:     by_value
      - .offset:         8
        .size:           4
        .value_kind:     by_value
      - .offset:         16
        .size:           8
        .value_kind:     by_value
      - .offset:         24
        .size:           8
        .value_kind:     by_value
      - .offset:         32
        .size:           8
        .value_kind:     by_value
      - .actual_access:  read_only
        .address_space:  global
        .offset:         40
        .size:           8
        .value_kind:     global_buffer
      - .actual_access:  read_only
        .address_space:  global
        .offset:         48
        .size:           8
        .value_kind:     global_buffer
      - .actual_access:  read_only
        .address_space:  global
        .offset:         56
        .size:           8
        .value_kind:     global_buffer
      - .actual_access:  read_only
        .address_space:  global
        .offset:         64
        .size:           8
        .value_kind:     global_buffer
      - .offset:         72
        .size:           8
        .value_kind:     by_value
      - .offset:         80
        .size:           8
        .value_kind:     by_value
      - .offset:         88
        .size:           8
        .value_kind:     by_value
      - .address_space:  global
        .offset:         96
        .size:           8
        .value_kind:     global_buffer
      - .offset:         104
        .size:           8
        .value_kind:     by_value
      - .offset:         112
        .size:           8
        .value_kind:     by_value
      - .offset:         120
        .size:           4
        .value_kind:     by_value
      - .offset:         124
        .size:           4
        .value_kind:     by_value
      - .offset:         128
        .size:           1
        .value_kind:     by_value
      - .offset:         136
        .size:           4
        .value_kind:     hidden_block_count_x
      - .offset:         140
        .size:           4
        .value_kind:     hidden_block_count_y
      - .offset:         144
        .size:           4
        .value_kind:     hidden_block_count_z
      - .offset:         148
        .size:           2
        .value_kind:     hidden_group_size_x
      - .offset:         150
        .size:           2
        .value_kind:     hidden_group_size_y
      - .offset:         152
        .size:           2
        .value_kind:     hidden_group_size_z
      - .offset:         154
        .size:           2
        .value_kind:     hidden_remainder_x
      - .offset:         156
        .size:           2
        .value_kind:     hidden_remainder_y
      - .offset:         158
        .size:           2
        .value_kind:     hidden_remainder_z
      - .offset:         176
        .size:           8
        .value_kind:     hidden_global_offset_x
      - .offset:         184
        .size:           8
        .value_kind:     hidden_global_offset_y
      - .offset:         192
        .size:           8
        .value_kind:     hidden_global_offset_z
      - .offset:         200
        .size:           2
        .value_kind:     hidden_grid_dims
    .group_segment_fixed_size: 448
    .kernarg_segment_align: 8
    .kernarg_segment_size: 392
    .language:       OpenCL C
    .language_version:
      - 2
      - 0
    .max_flat_workgroup_size: 64
    .name:           _ZN9rocsparseL29bsrmmnt_small_blockdim_kernelILj64ELj16ELj2EiiaaffEEv20rocsparse_direction_T3_S2_llNS_24const_host_device_scalarIT7_EEPKT2_PKS2_PKT4_PKT5_llS5_PT6_ll16rocsparse_order_21rocsparse_index_base_b
    .private_segment_fixed_size: 0
    .sgpr_count:     28
    .sgpr_spill_count: 0
    .symbol:         _ZN9rocsparseL29bsrmmnt_small_blockdim_kernelILj64ELj16ELj2EiiaaffEEv20rocsparse_direction_T3_S2_llNS_24const_host_device_scalarIT7_EEPKT2_PKS2_PKT4_PKT5_llS5_PT6_ll16rocsparse_order_21rocsparse_index_base_b.kd
    .uniform_work_group_size: 1
    .uses_dynamic_stack: false
    .vgpr_count:     35
    .vgpr_spill_count: 0
    .wavefront_size: 32
    .workgroup_processor_mode: 1
  - .args:
      - .offset:         0
        .size:           4
        .value_kind:     by_value
      - .offset:         4
        .size:           4
        .value_kind:     by_value
      - .offset:         8
        .size:           4
        .value_kind:     by_value
      - .offset:         16
        .size:           8
        .value_kind:     by_value
      - .offset:         24
        .size:           8
        .value_kind:     by_value
      - .offset:         32
        .size:           8
        .value_kind:     by_value
      - .actual_access:  read_only
        .address_space:  global
        .offset:         40
        .size:           8
        .value_kind:     global_buffer
      - .actual_access:  read_only
        .address_space:  global
        .offset:         48
        .size:           8
        .value_kind:     global_buffer
      - .actual_access:  read_only
        .address_space:  global
        .offset:         56
        .size:           8
        .value_kind:     global_buffer
      - .actual_access:  read_only
        .address_space:  global
        .offset:         64
        .size:           8
        .value_kind:     global_buffer
      - .offset:         72
        .size:           8
        .value_kind:     by_value
      - .offset:         80
        .size:           8
        .value_kind:     by_value
      - .offset:         88
        .size:           8
        .value_kind:     by_value
      - .address_space:  global
        .offset:         96
        .size:           8
        .value_kind:     global_buffer
      - .offset:         104
        .size:           8
        .value_kind:     by_value
      - .offset:         112
        .size:           8
        .value_kind:     by_value
      - .offset:         120
        .size:           4
        .value_kind:     by_value
      - .offset:         124
        .size:           4
        .value_kind:     by_value
      - .offset:         128
        .size:           1
        .value_kind:     by_value
      - .offset:         136
        .size:           4
        .value_kind:     hidden_block_count_x
      - .offset:         140
        .size:           4
        .value_kind:     hidden_block_count_y
      - .offset:         144
        .size:           4
        .value_kind:     hidden_block_count_z
      - .offset:         148
        .size:           2
        .value_kind:     hidden_group_size_x
      - .offset:         150
        .size:           2
        .value_kind:     hidden_group_size_y
      - .offset:         152
        .size:           2
        .value_kind:     hidden_group_size_z
      - .offset:         154
        .size:           2
        .value_kind:     hidden_remainder_x
      - .offset:         156
        .size:           2
        .value_kind:     hidden_remainder_y
      - .offset:         158
        .size:           2
        .value_kind:     hidden_remainder_z
      - .offset:         176
        .size:           8
        .value_kind:     hidden_global_offset_x
      - .offset:         184
        .size:           8
        .value_kind:     hidden_global_offset_y
      - .offset:         192
        .size:           8
        .value_kind:     hidden_global_offset_z
      - .offset:         200
        .size:           2
        .value_kind:     hidden_grid_dims
    .group_segment_fixed_size: 448
    .kernarg_segment_align: 8
    .kernarg_segment_size: 392
    .language:       OpenCL C
    .language_version:
      - 2
      - 0
    .max_flat_workgroup_size: 64
    .name:           _ZN9rocsparseL29bsrmmnt_small_blockdim_kernelILj64ELj32ELj2EiiaaffEEv20rocsparse_direction_T3_S2_llNS_24const_host_device_scalarIT7_EEPKT2_PKS2_PKT4_PKT5_llS5_PT6_ll16rocsparse_order_21rocsparse_index_base_b
    .private_segment_fixed_size: 0
    .sgpr_count:     28
    .sgpr_spill_count: 0
    .symbol:         _ZN9rocsparseL29bsrmmnt_small_blockdim_kernelILj64ELj32ELj2EiiaaffEEv20rocsparse_direction_T3_S2_llNS_24const_host_device_scalarIT7_EEPKT2_PKS2_PKT4_PKT5_llS5_PT6_ll16rocsparse_order_21rocsparse_index_base_b.kd
    .uniform_work_group_size: 1
    .uses_dynamic_stack: false
    .vgpr_count:     35
    .vgpr_spill_count: 0
    .wavefront_size: 32
    .workgroup_processor_mode: 1
  - .args:
      - .offset:         0
        .size:           4
        .value_kind:     by_value
      - .offset:         4
        .size:           4
        .value_kind:     by_value
      - .offset:         8
        .size:           4
        .value_kind:     by_value
      - .offset:         16
        .size:           8
        .value_kind:     by_value
      - .offset:         24
        .size:           8
        .value_kind:     by_value
      - .offset:         32
        .size:           8
        .value_kind:     by_value
      - .actual_access:  read_only
        .address_space:  global
        .offset:         40
        .size:           8
        .value_kind:     global_buffer
      - .actual_access:  read_only
        .address_space:  global
        .offset:         48
        .size:           8
        .value_kind:     global_buffer
      - .actual_access:  read_only
        .address_space:  global
        .offset:         56
        .size:           8
        .value_kind:     global_buffer
      - .actual_access:  read_only
        .address_space:  global
        .offset:         64
        .size:           8
        .value_kind:     global_buffer
      - .offset:         72
        .size:           8
        .value_kind:     by_value
      - .offset:         80
        .size:           8
        .value_kind:     by_value
      - .offset:         88
        .size:           8
        .value_kind:     by_value
      - .address_space:  global
        .offset:         96
        .size:           8
        .value_kind:     global_buffer
      - .offset:         104
        .size:           8
        .value_kind:     by_value
      - .offset:         112
        .size:           8
        .value_kind:     by_value
      - .offset:         120
        .size:           4
        .value_kind:     by_value
      - .offset:         124
        .size:           4
        .value_kind:     by_value
      - .offset:         128
        .size:           1
        .value_kind:     by_value
      - .offset:         136
        .size:           4
        .value_kind:     hidden_block_count_x
      - .offset:         140
        .size:           4
        .value_kind:     hidden_block_count_y
      - .offset:         144
        .size:           4
        .value_kind:     hidden_block_count_z
      - .offset:         148
        .size:           2
        .value_kind:     hidden_group_size_x
      - .offset:         150
        .size:           2
        .value_kind:     hidden_group_size_y
      - .offset:         152
        .size:           2
        .value_kind:     hidden_group_size_z
      - .offset:         154
        .size:           2
        .value_kind:     hidden_remainder_x
      - .offset:         156
        .size:           2
        .value_kind:     hidden_remainder_y
      - .offset:         158
        .size:           2
        .value_kind:     hidden_remainder_z
      - .offset:         176
        .size:           8
        .value_kind:     hidden_global_offset_x
      - .offset:         184
        .size:           8
        .value_kind:     hidden_global_offset_y
      - .offset:         192
        .size:           8
        .value_kind:     hidden_global_offset_z
      - .offset:         200
        .size:           2
        .value_kind:     hidden_grid_dims
    .group_segment_fixed_size: 448
    .kernarg_segment_align: 8
    .kernarg_segment_size: 392
    .language:       OpenCL C
    .language_version:
      - 2
      - 0
    .max_flat_workgroup_size: 64
    .name:           _ZN9rocsparseL29bsrmmnt_small_blockdim_kernelILj64ELj64ELj2EiiaaffEEv20rocsparse_direction_T3_S2_llNS_24const_host_device_scalarIT7_EEPKT2_PKS2_PKT4_PKT5_llS5_PT6_ll16rocsparse_order_21rocsparse_index_base_b
    .private_segment_fixed_size: 0
    .sgpr_count:     32
    .sgpr_spill_count: 0
    .symbol:         _ZN9rocsparseL29bsrmmnt_small_blockdim_kernelILj64ELj64ELj2EiiaaffEEv20rocsparse_direction_T3_S2_llNS_24const_host_device_scalarIT7_EEPKT2_PKS2_PKT4_PKT5_llS5_PT6_ll16rocsparse_order_21rocsparse_index_base_b.kd
    .uniform_work_group_size: 1
    .uses_dynamic_stack: false
    .vgpr_count:     26
    .vgpr_spill_count: 0
    .wavefront_size: 32
    .workgroup_processor_mode: 1
  - .args:
      - .offset:         0
        .size:           4
        .value_kind:     by_value
      - .offset:         4
        .size:           4
        .value_kind:     by_value
      - .offset:         8
        .size:           4
        .value_kind:     by_value
      - .offset:         16
        .size:           8
        .value_kind:     by_value
      - .offset:         24
        .size:           8
        .value_kind:     by_value
      - .offset:         32
        .size:           8
        .value_kind:     by_value
      - .actual_access:  read_only
        .address_space:  global
        .offset:         40
        .size:           8
        .value_kind:     global_buffer
      - .actual_access:  read_only
        .address_space:  global
        .offset:         48
        .size:           8
        .value_kind:     global_buffer
      - .actual_access:  read_only
        .address_space:  global
        .offset:         56
        .size:           8
        .value_kind:     global_buffer
      - .actual_access:  read_only
        .address_space:  global
        .offset:         64
        .size:           8
        .value_kind:     global_buffer
      - .offset:         72
        .size:           8
        .value_kind:     by_value
      - .offset:         80
        .size:           8
        .value_kind:     by_value
      - .offset:         88
        .size:           8
        .value_kind:     by_value
      - .address_space:  global
        .offset:         96
        .size:           8
        .value_kind:     global_buffer
      - .offset:         104
        .size:           8
        .value_kind:     by_value
      - .offset:         112
        .size:           8
        .value_kind:     by_value
      - .offset:         120
        .size:           4
        .value_kind:     by_value
      - .offset:         124
        .size:           4
        .value_kind:     by_value
      - .offset:         128
        .size:           1
        .value_kind:     by_value
      - .offset:         136
        .size:           4
        .value_kind:     hidden_block_count_x
      - .offset:         140
        .size:           4
        .value_kind:     hidden_block_count_y
      - .offset:         144
        .size:           4
        .value_kind:     hidden_block_count_z
      - .offset:         148
        .size:           2
        .value_kind:     hidden_group_size_x
      - .offset:         150
        .size:           2
        .value_kind:     hidden_group_size_y
      - .offset:         152
        .size:           2
        .value_kind:     hidden_group_size_z
      - .offset:         154
        .size:           2
        .value_kind:     hidden_remainder_x
      - .offset:         156
        .size:           2
        .value_kind:     hidden_remainder_y
      - .offset:         158
        .size:           2
        .value_kind:     hidden_remainder_z
      - .offset:         176
        .size:           8
        .value_kind:     hidden_global_offset_x
      - .offset:         184
        .size:           8
        .value_kind:     hidden_global_offset_y
      - .offset:         192
        .size:           8
        .value_kind:     hidden_global_offset_z
      - .offset:         200
        .size:           2
        .value_kind:     hidden_grid_dims
    .group_segment_fixed_size: 448
    .kernarg_segment_align: 8
    .kernarg_segment_size: 392
    .language:       OpenCL C
    .language_version:
      - 2
      - 0
    .max_flat_workgroup_size: 64
    .name:           _ZN9rocsparseL29bsrmmnt_small_blockdim_kernelILj64ELj8ELj2EliaaffEEv20rocsparse_direction_T3_S2_llNS_24const_host_device_scalarIT7_EEPKT2_PKS2_PKT4_PKT5_llS5_PT6_ll16rocsparse_order_21rocsparse_index_base_b
    .private_segment_fixed_size: 0
    .sgpr_count:     28
    .sgpr_spill_count: 0
    .symbol:         _ZN9rocsparseL29bsrmmnt_small_blockdim_kernelILj64ELj8ELj2EliaaffEEv20rocsparse_direction_T3_S2_llNS_24const_host_device_scalarIT7_EEPKT2_PKS2_PKT4_PKT5_llS5_PT6_ll16rocsparse_order_21rocsparse_index_base_b.kd
    .uniform_work_group_size: 1
    .uses_dynamic_stack: false
    .vgpr_count:     38
    .vgpr_spill_count: 0
    .wavefront_size: 32
    .workgroup_processor_mode: 1
  - .args:
      - .offset:         0
        .size:           4
        .value_kind:     by_value
      - .offset:         4
        .size:           4
        .value_kind:     by_value
      - .offset:         8
        .size:           4
        .value_kind:     by_value
      - .offset:         16
        .size:           8
        .value_kind:     by_value
      - .offset:         24
        .size:           8
        .value_kind:     by_value
      - .offset:         32
        .size:           8
        .value_kind:     by_value
      - .actual_access:  read_only
        .address_space:  global
        .offset:         40
        .size:           8
        .value_kind:     global_buffer
      - .actual_access:  read_only
        .address_space:  global
        .offset:         48
        .size:           8
        .value_kind:     global_buffer
      - .actual_access:  read_only
        .address_space:  global
        .offset:         56
        .size:           8
        .value_kind:     global_buffer
      - .actual_access:  read_only
        .address_space:  global
        .offset:         64
        .size:           8
        .value_kind:     global_buffer
      - .offset:         72
        .size:           8
        .value_kind:     by_value
      - .offset:         80
        .size:           8
        .value_kind:     by_value
      - .offset:         88
        .size:           8
        .value_kind:     by_value
      - .address_space:  global
        .offset:         96
        .size:           8
        .value_kind:     global_buffer
      - .offset:         104
        .size:           8
        .value_kind:     by_value
      - .offset:         112
        .size:           8
        .value_kind:     by_value
      - .offset:         120
        .size:           4
        .value_kind:     by_value
      - .offset:         124
        .size:           4
        .value_kind:     by_value
      - .offset:         128
        .size:           1
        .value_kind:     by_value
      - .offset:         136
        .size:           4
        .value_kind:     hidden_block_count_x
      - .offset:         140
        .size:           4
        .value_kind:     hidden_block_count_y
      - .offset:         144
        .size:           4
        .value_kind:     hidden_block_count_z
      - .offset:         148
        .size:           2
        .value_kind:     hidden_group_size_x
      - .offset:         150
        .size:           2
        .value_kind:     hidden_group_size_y
      - .offset:         152
        .size:           2
        .value_kind:     hidden_group_size_z
      - .offset:         154
        .size:           2
        .value_kind:     hidden_remainder_x
      - .offset:         156
        .size:           2
        .value_kind:     hidden_remainder_y
      - .offset:         158
        .size:           2
        .value_kind:     hidden_remainder_z
      - .offset:         176
        .size:           8
        .value_kind:     hidden_global_offset_x
      - .offset:         184
        .size:           8
        .value_kind:     hidden_global_offset_y
      - .offset:         192
        .size:           8
        .value_kind:     hidden_global_offset_z
      - .offset:         200
        .size:           2
        .value_kind:     hidden_grid_dims
    .group_segment_fixed_size: 448
    .kernarg_segment_align: 8
    .kernarg_segment_size: 392
    .language:       OpenCL C
    .language_version:
      - 2
      - 0
    .max_flat_workgroup_size: 64
    .name:           _ZN9rocsparseL29bsrmmnt_small_blockdim_kernelILj64ELj16ELj2EliaaffEEv20rocsparse_direction_T3_S2_llNS_24const_host_device_scalarIT7_EEPKT2_PKS2_PKT4_PKT5_llS5_PT6_ll16rocsparse_order_21rocsparse_index_base_b
    .private_segment_fixed_size: 0
    .sgpr_count:     28
    .sgpr_spill_count: 0
    .symbol:         _ZN9rocsparseL29bsrmmnt_small_blockdim_kernelILj64ELj16ELj2EliaaffEEv20rocsparse_direction_T3_S2_llNS_24const_host_device_scalarIT7_EEPKT2_PKS2_PKT4_PKT5_llS5_PT6_ll16rocsparse_order_21rocsparse_index_base_b.kd
    .uniform_work_group_size: 1
    .uses_dynamic_stack: false
    .vgpr_count:     38
    .vgpr_spill_count: 0
    .wavefront_size: 32
    .workgroup_processor_mode: 1
  - .args:
      - .offset:         0
        .size:           4
        .value_kind:     by_value
      - .offset:         4
        .size:           4
        .value_kind:     by_value
      - .offset:         8
        .size:           4
        .value_kind:     by_value
      - .offset:         16
        .size:           8
        .value_kind:     by_value
      - .offset:         24
        .size:           8
        .value_kind:     by_value
      - .offset:         32
        .size:           8
        .value_kind:     by_value
      - .actual_access:  read_only
        .address_space:  global
        .offset:         40
        .size:           8
        .value_kind:     global_buffer
      - .actual_access:  read_only
        .address_space:  global
        .offset:         48
        .size:           8
        .value_kind:     global_buffer
      - .actual_access:  read_only
        .address_space:  global
        .offset:         56
        .size:           8
        .value_kind:     global_buffer
      - .actual_access:  read_only
        .address_space:  global
        .offset:         64
        .size:           8
        .value_kind:     global_buffer
      - .offset:         72
        .size:           8
        .value_kind:     by_value
      - .offset:         80
        .size:           8
        .value_kind:     by_value
      - .offset:         88
        .size:           8
        .value_kind:     by_value
      - .address_space:  global
        .offset:         96
        .size:           8
        .value_kind:     global_buffer
      - .offset:         104
        .size:           8
        .value_kind:     by_value
      - .offset:         112
        .size:           8
        .value_kind:     by_value
      - .offset:         120
        .size:           4
        .value_kind:     by_value
      - .offset:         124
        .size:           4
        .value_kind:     by_value
      - .offset:         128
        .size:           1
        .value_kind:     by_value
      - .offset:         136
        .size:           4
        .value_kind:     hidden_block_count_x
      - .offset:         140
        .size:           4
        .value_kind:     hidden_block_count_y
      - .offset:         144
        .size:           4
        .value_kind:     hidden_block_count_z
      - .offset:         148
        .size:           2
        .value_kind:     hidden_group_size_x
      - .offset:         150
        .size:           2
        .value_kind:     hidden_group_size_y
      - .offset:         152
        .size:           2
        .value_kind:     hidden_group_size_z
      - .offset:         154
        .size:           2
        .value_kind:     hidden_remainder_x
      - .offset:         156
        .size:           2
        .value_kind:     hidden_remainder_y
      - .offset:         158
        .size:           2
        .value_kind:     hidden_remainder_z
      - .offset:         176
        .size:           8
        .value_kind:     hidden_global_offset_x
      - .offset:         184
        .size:           8
        .value_kind:     hidden_global_offset_y
      - .offset:         192
        .size:           8
        .value_kind:     hidden_global_offset_z
      - .offset:         200
        .size:           2
        .value_kind:     hidden_grid_dims
    .group_segment_fixed_size: 448
    .kernarg_segment_align: 8
    .kernarg_segment_size: 392
    .language:       OpenCL C
    .language_version:
      - 2
      - 0
    .max_flat_workgroup_size: 64
    .name:           _ZN9rocsparseL29bsrmmnt_small_blockdim_kernelILj64ELj32ELj2EliaaffEEv20rocsparse_direction_T3_S2_llNS_24const_host_device_scalarIT7_EEPKT2_PKS2_PKT4_PKT5_llS5_PT6_ll16rocsparse_order_21rocsparse_index_base_b
    .private_segment_fixed_size: 0
    .sgpr_count:     28
    .sgpr_spill_count: 0
    .symbol:         _ZN9rocsparseL29bsrmmnt_small_blockdim_kernelILj64ELj32ELj2EliaaffEEv20rocsparse_direction_T3_S2_llNS_24const_host_device_scalarIT7_EEPKT2_PKS2_PKT4_PKT5_llS5_PT6_ll16rocsparse_order_21rocsparse_index_base_b.kd
    .uniform_work_group_size: 1
    .uses_dynamic_stack: false
    .vgpr_count:     38
    .vgpr_spill_count: 0
    .wavefront_size: 32
    .workgroup_processor_mode: 1
  - .args:
      - .offset:         0
        .size:           4
        .value_kind:     by_value
      - .offset:         4
        .size:           4
        .value_kind:     by_value
      - .offset:         8
        .size:           4
        .value_kind:     by_value
      - .offset:         16
        .size:           8
        .value_kind:     by_value
      - .offset:         24
        .size:           8
        .value_kind:     by_value
      - .offset:         32
        .size:           8
        .value_kind:     by_value
      - .actual_access:  read_only
        .address_space:  global
        .offset:         40
        .size:           8
        .value_kind:     global_buffer
      - .actual_access:  read_only
        .address_space:  global
        .offset:         48
        .size:           8
        .value_kind:     global_buffer
      - .actual_access:  read_only
        .address_space:  global
        .offset:         56
        .size:           8
        .value_kind:     global_buffer
      - .actual_access:  read_only
        .address_space:  global
        .offset:         64
        .size:           8
        .value_kind:     global_buffer
      - .offset:         72
        .size:           8
        .value_kind:     by_value
      - .offset:         80
        .size:           8
        .value_kind:     by_value
      - .offset:         88
        .size:           8
        .value_kind:     by_value
      - .address_space:  global
        .offset:         96
        .size:           8
        .value_kind:     global_buffer
      - .offset:         104
        .size:           8
        .value_kind:     by_value
      - .offset:         112
        .size:           8
        .value_kind:     by_value
      - .offset:         120
        .size:           4
        .value_kind:     by_value
      - .offset:         124
        .size:           4
        .value_kind:     by_value
      - .offset:         128
        .size:           1
        .value_kind:     by_value
      - .offset:         136
        .size:           4
        .value_kind:     hidden_block_count_x
      - .offset:         140
        .size:           4
        .value_kind:     hidden_block_count_y
      - .offset:         144
        .size:           4
        .value_kind:     hidden_block_count_z
      - .offset:         148
        .size:           2
        .value_kind:     hidden_group_size_x
      - .offset:         150
        .size:           2
        .value_kind:     hidden_group_size_y
      - .offset:         152
        .size:           2
        .value_kind:     hidden_group_size_z
      - .offset:         154
        .size:           2
        .value_kind:     hidden_remainder_x
      - .offset:         156
        .size:           2
        .value_kind:     hidden_remainder_y
      - .offset:         158
        .size:           2
        .value_kind:     hidden_remainder_z
      - .offset:         176
        .size:           8
        .value_kind:     hidden_global_offset_x
      - .offset:         184
        .size:           8
        .value_kind:     hidden_global_offset_y
      - .offset:         192
        .size:           8
        .value_kind:     hidden_global_offset_z
      - .offset:         200
        .size:           2
        .value_kind:     hidden_grid_dims
    .group_segment_fixed_size: 448
    .kernarg_segment_align: 8
    .kernarg_segment_size: 392
    .language:       OpenCL C
    .language_version:
      - 2
      - 0
    .max_flat_workgroup_size: 64
    .name:           _ZN9rocsparseL29bsrmmnt_small_blockdim_kernelILj64ELj64ELj2EliaaffEEv20rocsparse_direction_T3_S2_llNS_24const_host_device_scalarIT7_EEPKT2_PKS2_PKT4_PKT5_llS5_PT6_ll16rocsparse_order_21rocsparse_index_base_b
    .private_segment_fixed_size: 0
    .sgpr_count:     32
    .sgpr_spill_count: 0
    .symbol:         _ZN9rocsparseL29bsrmmnt_small_blockdim_kernelILj64ELj64ELj2EliaaffEEv20rocsparse_direction_T3_S2_llNS_24const_host_device_scalarIT7_EEPKT2_PKS2_PKT4_PKT5_llS5_PT6_ll16rocsparse_order_21rocsparse_index_base_b.kd
    .uniform_work_group_size: 1
    .uses_dynamic_stack: false
    .vgpr_count:     29
    .vgpr_spill_count: 0
    .wavefront_size: 32
    .workgroup_processor_mode: 1
  - .args:
      - .offset:         0
        .size:           4
        .value_kind:     by_value
      - .offset:         8
        .size:           8
        .value_kind:     by_value
      - .offset:         16
        .size:           8
        .value_kind:     by_value
      - .offset:         24
        .size:           8
        .value_kind:     by_value
      - .offset:         32
        .size:           8
        .value_kind:     by_value
      - .offset:         40
        .size:           8
        .value_kind:     by_value
      - .actual_access:  read_only
        .address_space:  global
        .offset:         48
        .size:           8
        .value_kind:     global_buffer
      - .actual_access:  read_only
        .address_space:  global
        .offset:         56
        .size:           8
        .value_kind:     global_buffer
      - .actual_access:  read_only
        .address_space:  global
        .offset:         64
        .size:           8
        .value_kind:     global_buffer
      - .actual_access:  read_only
        .address_space:  global
        .offset:         72
        .size:           8
        .value_kind:     global_buffer
      - .offset:         80
        .size:           8
        .value_kind:     by_value
      - .offset:         88
        .size:           8
        .value_kind:     by_value
      - .offset:         96
        .size:           8
        .value_kind:     by_value
      - .address_space:  global
        .offset:         104
        .size:           8
        .value_kind:     global_buffer
      - .offset:         112
        .size:           8
        .value_kind:     by_value
      - .offset:         120
        .size:           8
        .value_kind:     by_value
      - .offset:         128
        .size:           4
        .value_kind:     by_value
      - .offset:         132
        .size:           4
        .value_kind:     by_value
      - .offset:         136
        .size:           1
        .value_kind:     by_value
      - .offset:         144
        .size:           4
        .value_kind:     hidden_block_count_x
      - .offset:         148
        .size:           4
        .value_kind:     hidden_block_count_y
      - .offset:         152
        .size:           4
        .value_kind:     hidden_block_count_z
      - .offset:         156
        .size:           2
        .value_kind:     hidden_group_size_x
      - .offset:         158
        .size:           2
        .value_kind:     hidden_group_size_y
      - .offset:         160
        .size:           2
        .value_kind:     hidden_group_size_z
      - .offset:         162
        .size:           2
        .value_kind:     hidden_remainder_x
      - .offset:         164
        .size:           2
        .value_kind:     hidden_remainder_y
      - .offset:         166
        .size:           2
        .value_kind:     hidden_remainder_z
      - .offset:         184
        .size:           8
        .value_kind:     hidden_global_offset_x
      - .offset:         192
        .size:           8
        .value_kind:     hidden_global_offset_y
      - .offset:         200
        .size:           8
        .value_kind:     hidden_global_offset_z
      - .offset:         208
        .size:           2
        .value_kind:     hidden_grid_dims
    .group_segment_fixed_size: 704
    .kernarg_segment_align: 8
    .kernarg_segment_size: 400
    .language:       OpenCL C
    .language_version:
      - 2
      - 0
    .max_flat_workgroup_size: 64
    .name:           _ZN9rocsparseL29bsrmmnt_small_blockdim_kernelILj64ELj8ELj2EllaaffEEv20rocsparse_direction_T3_S2_llNS_24const_host_device_scalarIT7_EEPKT2_PKS2_PKT4_PKT5_llS5_PT6_ll16rocsparse_order_21rocsparse_index_base_b
    .private_segment_fixed_size: 0
    .sgpr_count:     28
    .sgpr_spill_count: 0
    .symbol:         _ZN9rocsparseL29bsrmmnt_small_blockdim_kernelILj64ELj8ELj2EllaaffEEv20rocsparse_direction_T3_S2_llNS_24const_host_device_scalarIT7_EEPKT2_PKS2_PKT4_PKT5_llS5_PT6_ll16rocsparse_order_21rocsparse_index_base_b.kd
    .uniform_work_group_size: 1
    .uses_dynamic_stack: false
    .vgpr_count:     33
    .vgpr_spill_count: 0
    .wavefront_size: 32
    .workgroup_processor_mode: 1
  - .args:
      - .offset:         0
        .size:           4
        .value_kind:     by_value
      - .offset:         8
        .size:           8
        .value_kind:     by_value
      - .offset:         16
        .size:           8
        .value_kind:     by_value
      - .offset:         24
        .size:           8
        .value_kind:     by_value
      - .offset:         32
        .size:           8
        .value_kind:     by_value
      - .offset:         40
        .size:           8
        .value_kind:     by_value
      - .actual_access:  read_only
        .address_space:  global
        .offset:         48
        .size:           8
        .value_kind:     global_buffer
      - .actual_access:  read_only
        .address_space:  global
        .offset:         56
        .size:           8
        .value_kind:     global_buffer
      - .actual_access:  read_only
        .address_space:  global
        .offset:         64
        .size:           8
        .value_kind:     global_buffer
      - .actual_access:  read_only
        .address_space:  global
        .offset:         72
        .size:           8
        .value_kind:     global_buffer
      - .offset:         80
        .size:           8
        .value_kind:     by_value
      - .offset:         88
        .size:           8
        .value_kind:     by_value
      - .offset:         96
        .size:           8
        .value_kind:     by_value
      - .address_space:  global
        .offset:         104
        .size:           8
        .value_kind:     global_buffer
      - .offset:         112
        .size:           8
        .value_kind:     by_value
      - .offset:         120
        .size:           8
        .value_kind:     by_value
      - .offset:         128
        .size:           4
        .value_kind:     by_value
      - .offset:         132
        .size:           4
        .value_kind:     by_value
      - .offset:         136
        .size:           1
        .value_kind:     by_value
      - .offset:         144
        .size:           4
        .value_kind:     hidden_block_count_x
      - .offset:         148
        .size:           4
        .value_kind:     hidden_block_count_y
      - .offset:         152
        .size:           4
        .value_kind:     hidden_block_count_z
      - .offset:         156
        .size:           2
        .value_kind:     hidden_group_size_x
      - .offset:         158
        .size:           2
        .value_kind:     hidden_group_size_y
      - .offset:         160
        .size:           2
        .value_kind:     hidden_group_size_z
      - .offset:         162
        .size:           2
        .value_kind:     hidden_remainder_x
      - .offset:         164
        .size:           2
        .value_kind:     hidden_remainder_y
      - .offset:         166
        .size:           2
        .value_kind:     hidden_remainder_z
      - .offset:         184
        .size:           8
        .value_kind:     hidden_global_offset_x
      - .offset:         192
        .size:           8
        .value_kind:     hidden_global_offset_y
      - .offset:         200
        .size:           8
        .value_kind:     hidden_global_offset_z
      - .offset:         208
        .size:           2
        .value_kind:     hidden_grid_dims
    .group_segment_fixed_size: 704
    .kernarg_segment_align: 8
    .kernarg_segment_size: 400
    .language:       OpenCL C
    .language_version:
      - 2
      - 0
    .max_flat_workgroup_size: 64
    .name:           _ZN9rocsparseL29bsrmmnt_small_blockdim_kernelILj64ELj16ELj2EllaaffEEv20rocsparse_direction_T3_S2_llNS_24const_host_device_scalarIT7_EEPKT2_PKS2_PKT4_PKT5_llS5_PT6_ll16rocsparse_order_21rocsparse_index_base_b
    .private_segment_fixed_size: 0
    .sgpr_count:     28
    .sgpr_spill_count: 0
    .symbol:         _ZN9rocsparseL29bsrmmnt_small_blockdim_kernelILj64ELj16ELj2EllaaffEEv20rocsparse_direction_T3_S2_llNS_24const_host_device_scalarIT7_EEPKT2_PKS2_PKT4_PKT5_llS5_PT6_ll16rocsparse_order_21rocsparse_index_base_b.kd
    .uniform_work_group_size: 1
    .uses_dynamic_stack: false
    .vgpr_count:     33
    .vgpr_spill_count: 0
    .wavefront_size: 32
    .workgroup_processor_mode: 1
  - .args:
      - .offset:         0
        .size:           4
        .value_kind:     by_value
      - .offset:         8
        .size:           8
        .value_kind:     by_value
      - .offset:         16
        .size:           8
        .value_kind:     by_value
      - .offset:         24
        .size:           8
        .value_kind:     by_value
      - .offset:         32
        .size:           8
        .value_kind:     by_value
      - .offset:         40
        .size:           8
        .value_kind:     by_value
      - .actual_access:  read_only
        .address_space:  global
        .offset:         48
        .size:           8
        .value_kind:     global_buffer
      - .actual_access:  read_only
        .address_space:  global
        .offset:         56
        .size:           8
        .value_kind:     global_buffer
      - .actual_access:  read_only
        .address_space:  global
        .offset:         64
        .size:           8
        .value_kind:     global_buffer
      - .actual_access:  read_only
        .address_space:  global
        .offset:         72
        .size:           8
        .value_kind:     global_buffer
      - .offset:         80
        .size:           8
        .value_kind:     by_value
      - .offset:         88
        .size:           8
        .value_kind:     by_value
      - .offset:         96
        .size:           8
        .value_kind:     by_value
      - .address_space:  global
        .offset:         104
        .size:           8
        .value_kind:     global_buffer
      - .offset:         112
        .size:           8
        .value_kind:     by_value
      - .offset:         120
        .size:           8
        .value_kind:     by_value
      - .offset:         128
        .size:           4
        .value_kind:     by_value
      - .offset:         132
        .size:           4
        .value_kind:     by_value
      - .offset:         136
        .size:           1
        .value_kind:     by_value
      - .offset:         144
        .size:           4
        .value_kind:     hidden_block_count_x
      - .offset:         148
        .size:           4
        .value_kind:     hidden_block_count_y
      - .offset:         152
        .size:           4
        .value_kind:     hidden_block_count_z
      - .offset:         156
        .size:           2
        .value_kind:     hidden_group_size_x
      - .offset:         158
        .size:           2
        .value_kind:     hidden_group_size_y
      - .offset:         160
        .size:           2
        .value_kind:     hidden_group_size_z
      - .offset:         162
        .size:           2
        .value_kind:     hidden_remainder_x
      - .offset:         164
        .size:           2
        .value_kind:     hidden_remainder_y
      - .offset:         166
        .size:           2
        .value_kind:     hidden_remainder_z
      - .offset:         184
        .size:           8
        .value_kind:     hidden_global_offset_x
      - .offset:         192
        .size:           8
        .value_kind:     hidden_global_offset_y
      - .offset:         200
        .size:           8
        .value_kind:     hidden_global_offset_z
      - .offset:         208
        .size:           2
        .value_kind:     hidden_grid_dims
    .group_segment_fixed_size: 704
    .kernarg_segment_align: 8
    .kernarg_segment_size: 400
    .language:       OpenCL C
    .language_version:
      - 2
      - 0
    .max_flat_workgroup_size: 64
    .name:           _ZN9rocsparseL29bsrmmnt_small_blockdim_kernelILj64ELj32ELj2EllaaffEEv20rocsparse_direction_T3_S2_llNS_24const_host_device_scalarIT7_EEPKT2_PKS2_PKT4_PKT5_llS5_PT6_ll16rocsparse_order_21rocsparse_index_base_b
    .private_segment_fixed_size: 0
    .sgpr_count:     28
    .sgpr_spill_count: 0
    .symbol:         _ZN9rocsparseL29bsrmmnt_small_blockdim_kernelILj64ELj32ELj2EllaaffEEv20rocsparse_direction_T3_S2_llNS_24const_host_device_scalarIT7_EEPKT2_PKS2_PKT4_PKT5_llS5_PT6_ll16rocsparse_order_21rocsparse_index_base_b.kd
    .uniform_work_group_size: 1
    .uses_dynamic_stack: false
    .vgpr_count:     33
    .vgpr_spill_count: 0
    .wavefront_size: 32
    .workgroup_processor_mode: 1
  - .args:
      - .offset:         0
        .size:           4
        .value_kind:     by_value
      - .offset:         8
        .size:           8
        .value_kind:     by_value
      - .offset:         16
        .size:           8
        .value_kind:     by_value
      - .offset:         24
        .size:           8
        .value_kind:     by_value
      - .offset:         32
        .size:           8
        .value_kind:     by_value
      - .offset:         40
        .size:           8
        .value_kind:     by_value
      - .actual_access:  read_only
        .address_space:  global
        .offset:         48
        .size:           8
        .value_kind:     global_buffer
      - .actual_access:  read_only
        .address_space:  global
        .offset:         56
        .size:           8
        .value_kind:     global_buffer
      - .actual_access:  read_only
        .address_space:  global
        .offset:         64
        .size:           8
        .value_kind:     global_buffer
      - .actual_access:  read_only
        .address_space:  global
        .offset:         72
        .size:           8
        .value_kind:     global_buffer
      - .offset:         80
        .size:           8
        .value_kind:     by_value
      - .offset:         88
        .size:           8
        .value_kind:     by_value
      - .offset:         96
        .size:           8
        .value_kind:     by_value
      - .address_space:  global
        .offset:         104
        .size:           8
        .value_kind:     global_buffer
      - .offset:         112
        .size:           8
        .value_kind:     by_value
      - .offset:         120
        .size:           8
        .value_kind:     by_value
      - .offset:         128
        .size:           4
        .value_kind:     by_value
      - .offset:         132
        .size:           4
        .value_kind:     by_value
      - .offset:         136
        .size:           1
        .value_kind:     by_value
      - .offset:         144
        .size:           4
        .value_kind:     hidden_block_count_x
      - .offset:         148
        .size:           4
        .value_kind:     hidden_block_count_y
      - .offset:         152
        .size:           4
        .value_kind:     hidden_block_count_z
      - .offset:         156
        .size:           2
        .value_kind:     hidden_group_size_x
      - .offset:         158
        .size:           2
        .value_kind:     hidden_group_size_y
      - .offset:         160
        .size:           2
        .value_kind:     hidden_group_size_z
      - .offset:         162
        .size:           2
        .value_kind:     hidden_remainder_x
      - .offset:         164
        .size:           2
        .value_kind:     hidden_remainder_y
      - .offset:         166
        .size:           2
        .value_kind:     hidden_remainder_z
      - .offset:         184
        .size:           8
        .value_kind:     hidden_global_offset_x
      - .offset:         192
        .size:           8
        .value_kind:     hidden_global_offset_y
      - .offset:         200
        .size:           8
        .value_kind:     hidden_global_offset_z
      - .offset:         208
        .size:           2
        .value_kind:     hidden_grid_dims
    .group_segment_fixed_size: 704
    .kernarg_segment_align: 8
    .kernarg_segment_size: 400
    .language:       OpenCL C
    .language_version:
      - 2
      - 0
    .max_flat_workgroup_size: 64
    .name:           _ZN9rocsparseL29bsrmmnt_small_blockdim_kernelILj64ELj64ELj2EllaaffEEv20rocsparse_direction_T3_S2_llNS_24const_host_device_scalarIT7_EEPKT2_PKS2_PKT4_PKT5_llS5_PT6_ll16rocsparse_order_21rocsparse_index_base_b
    .private_segment_fixed_size: 0
    .sgpr_count:     28
    .sgpr_spill_count: 0
    .symbol:         _ZN9rocsparseL29bsrmmnt_small_blockdim_kernelILj64ELj64ELj2EllaaffEEv20rocsparse_direction_T3_S2_llNS_24const_host_device_scalarIT7_EEPKT2_PKS2_PKT4_PKT5_llS5_PT6_ll16rocsparse_order_21rocsparse_index_base_b.kd
    .uniform_work_group_size: 1
    .uses_dynamic_stack: false
    .vgpr_count:     31
    .vgpr_spill_count: 0
    .wavefront_size: 32
    .workgroup_processor_mode: 1
amdhsa.target:   amdgcn-amd-amdhsa--gfx1100
amdhsa.version:
  - 1
  - 2
...

	.end_amdgpu_metadata
